;; amdgpu-corpus repo=zjin-lcf/HeCBench kind=compiled arch=gfx1201 opt=O3
	.amdgcn_target "amdgcn-amd-amdhsa--gfx1201"
	.amdhsa_code_object_version 6
	.text
	.protected	_Z20calculateForceKernelP6atom_tidPKdS2_idiid ; -- Begin function _Z20calculateForceKernelP6atom_tidPKdS2_idiid
	.globl	_Z20calculateForceKernelP6atom_tidPKdS2_idiid
	.p2align	8
	.type	_Z20calculateForceKernelP6atom_tidPKdS2_idiid,@function
_Z20calculateForceKernelP6atom_tidPKdS2_idiid: ; @_Z20calculateForceKernelP6atom_tidPKdS2_idiid
; %bb.0:
	s_clause 0x1
	s_load_b32 s2, s[0:1], 0x54
	s_load_b32 s33, s[0:1], 0x8
	s_mov_b64 s[46:47], s[0:1]
	s_wait_kmcnt 0x0
	s_and_b32 s0, s2, 0xffff
	s_delay_alu instid0(SALU_CYCLE_1)
	v_mad_co_u64_u32 v[36:37], null, ttmp9, s0, v[0:1]
	s_mov_b32 s0, exec_lo
	v_cmpx_gt_i32_e64 s33, v36
	s_cbranch_execz .LBB0_120
; %bb.1:
	s_clause 0x2
	s_load_b64 s[0:1], s[46:47], 0x0
	s_load_b128 s[4:7], s[46:47], 0x10
	; meta instruction
	s_load_b96 s[28:30], s[46:47], 0x20
	s_wait_kmcnt 0x0
	v_writelane_b32 v81, s4, 0
	s_cmp_gt_u32 s30, 2
	v_writelane_b32 v81, s5, 1
	v_writelane_b32 v81, s6, 2
	;; [unrolled: 1-line block ×4, first 2 shown]
	v_mad_co_i64_i32 v[32:33], null, 0x70, v36, s[0:1]
	s_clause 0x5
	global_load_b128 v[12:15], v[32:33], off offset:16
	global_load_b128 v[16:19], v[32:33], off
	global_load_b128 v[20:23], v[32:33], off offset:32
	global_load_b64 v[34:35], v[32:33], off offset:72
	global_load_b128 v[24:27], v[32:33], off offset:96
	global_load_b128 v[28:31], v[32:33], off offset:80
	v_writelane_b32 v81, s1, 5
	s_cbranch_scc0 .LBB0_4
; %bb.2:
	s_add_co_i32 s0, s30, -1
	s_wait_alu 0xfffe
	s_cmp_gt_u32 s0, 1
	s_cbranch_scc0 .LBB0_35
.LBB0_3:
	s_cmp_lg_u32 s30, 2
	s_cbranch_scc0 .LBB0_91
	s_branch .LBB0_120
.LBB0_4:
	v_dual_mov_b32 v4, 0 :: v_dual_add_nc_u32 v51, 1, v36
	v_dual_mov_b32 v5, 0 :: v_dual_mov_b32 v6, 0
	v_dual_mov_b32 v7, 0 :: v_dual_mov_b32 v8, 0
	v_mov_b32_e32 v9, 0
	s_mov_b32 s0, exec_lo
	v_cmpx_gt_i32_e64 s33, v51
	s_cbranch_execz .LBB0_28
; %bb.5:
	v_mov_b32_e32 v8, 0
	v_dual_mov_b32 v9, 0 :: v_dual_mov_b32 v6, 0
	v_mov_b32_e32 v4, 0
	s_wait_loadcnt 0x2
	v_cmp_eq_u32_e64 s1, 0, v35
	v_mov_b32_e32 v7, 0
	v_mov_b32_e32 v5, 0
	v_cmp_ne_u32_e64 s2, 0, v35
	s_mov_b32 s20, 0
	s_branch .LBB0_10
.LBB0_6:                                ;   in Loop: Header=BB0_10 Depth=1
	s_wait_alu 0xfffe
	s_or_b32 exec_lo, exec_lo, s4
.LBB0_7:                                ;   in Loop: Header=BB0_10 Depth=1
	s_delay_alu instid0(SALU_CYCLE_1)
	s_or_b32 exec_lo, exec_lo, s23
.LBB0_8:                                ;   in Loop: Header=BB0_10 Depth=1
	s_delay_alu instid0(SALU_CYCLE_1)
	s_or_b32 exec_lo, exec_lo, s22
.LBB0_9:                                ;   in Loop: Header=BB0_10 Depth=1
	s_delay_alu instid0(SALU_CYCLE_1) | instskip(SKIP_1) | instid1(VALU_DEP_1)
	s_or_b32 exec_lo, exec_lo, s21
	v_add_nc_u32_e32 v51, 1, v51
	v_cmp_le_i32_e32 vcc_lo, s33, v51
	s_or_b32 s20, vcc_lo, s20
	s_delay_alu instid0(SALU_CYCLE_1)
	s_and_not1_b32 exec_lo, exec_lo, s20
	s_cbranch_execz .LBB0_27
.LBB0_10:                               ; =>This Loop Header: Depth=1
                                        ;     Child Loop BB0_21 Depth 2
                                        ;     Child Loop BB0_23 Depth 2
	;; [unrolled: 1-line block ×3, first 2 shown]
	s_load_b64 s[4:5], s[46:47], 0x0
	s_mov_b32 s21, exec_lo
	s_wait_kmcnt 0x0
	v_mad_co_i64_i32 v[10:11], null, 0x70, v51, s[4:5]
	global_load_b32 v0, v[10:11], off offset:72
	s_wait_loadcnt 0x0
	v_cmpx_ne_u32_e64 v34, v0
	s_cbranch_execz .LBB0_9
; %bb.11:                               ;   in Loop: Header=BB0_10 Depth=1
	s_mov_b32 s3, s1
	s_and_saveexec_b32 s4, s2
	s_cbranch_execz .LBB0_13
; %bb.12:                               ;   in Loop: Header=BB0_10 Depth=1
	global_load_b32 v0, v[10:11], off offset:76
	s_and_not1_b32 s3, s1, exec_lo
	s_wait_loadcnt 0x0
	v_cmp_eq_u32_e32 vcc_lo, 0, v0
	s_and_b32 s5, vcc_lo, exec_lo
	s_wait_alu 0xfffe
	s_or_b32 s3, s3, s5
.LBB0_13:                               ;   in Loop: Header=BB0_10 Depth=1
	s_wait_alu 0xfffe
	s_or_b32 exec_lo, exec_lo, s4
	s_and_saveexec_b32 s22, s3
	s_cbranch_execz .LBB0_8
; %bb.14:                               ;   in Loop: Header=BB0_10 Depth=1
	global_load_b64 v[2:3], v[10:11], off offset:32
	v_dual_mov_b32 v0, v20 :: v_dual_mov_b32 v1, v21
	s_mov_b32 s3, exec_lo
	s_wait_loadcnt 0x0
	v_cmpx_neq_f64_e32 v[20:21], v[2:3]
	s_cbranch_execz .LBB0_16
; %bb.15:                               ;   in Loop: Header=BB0_10 Depth=1
	v_add_f64_e32 v[0:1], v[20:21], v[2:3]
	s_delay_alu instid0(VALU_DEP_1)
	v_mul_f64_e32 v[0:1], 0.5, v[0:1]
.LBB0_16:                               ;   in Loop: Header=BB0_10 Depth=1
	s_or_b32 exec_lo, exec_lo, s3
	global_load_b64 v[2:3], v[10:11], off offset:24
	s_wait_loadcnt 0x0
	v_mul_f64_e32 v[37:38], v[14:15], v[2:3]
	s_delay_alu instid0(VALU_DEP_1) | instskip(SKIP_2) | instid1(VALU_DEP_1)
	v_cmp_gt_f64_e32 vcc_lo, 0x10000000, v[37:38]
	s_wait_alu 0xfffd
	v_cndmask_b32_e64 v39, 0, 0x100, vcc_lo
	v_ldexp_f64 v[37:38], v[37:38], v39
	s_delay_alu instid0(VALU_DEP_1) | instskip(NEXT) | instid1(TRANS32_DEP_1)
	v_rsq_f64_e32 v[39:40], v[37:38]
	v_mul_f64_e32 v[41:42], v[37:38], v[39:40]
	v_mul_f64_e32 v[39:40], 0.5, v[39:40]
	s_delay_alu instid0(VALU_DEP_1) | instskip(NEXT) | instid1(VALU_DEP_1)
	v_fma_f64 v[43:44], -v[39:40], v[41:42], 0.5
	v_fma_f64 v[41:42], v[41:42], v[43:44], v[41:42]
	v_fma_f64 v[39:40], v[39:40], v[43:44], v[39:40]
	s_delay_alu instid0(VALU_DEP_2) | instskip(NEXT) | instid1(VALU_DEP_1)
	v_fma_f64 v[43:44], -v[41:42], v[41:42], v[37:38]
	v_fma_f64 v[41:42], v[43:44], v[39:40], v[41:42]
	s_delay_alu instid0(VALU_DEP_1) | instskip(NEXT) | instid1(VALU_DEP_1)
	v_fma_f64 v[43:44], -v[41:42], v[41:42], v[37:38]
	v_fma_f64 v[39:40], v[43:44], v[39:40], v[41:42]
	v_cndmask_b32_e64 v41, 0, 0xffffff80, vcc_lo
	v_cmp_class_f64_e64 vcc_lo, v[37:38], 0x260
	s_delay_alu instid0(VALU_DEP_2) | instskip(SKIP_1) | instid1(VALU_DEP_1)
	v_ldexp_f64 v[39:40], v[39:40], v41
	s_wait_alu 0xfffd
	v_dual_cndmask_b32 v37, v39, v37 :: v_dual_cndmask_b32 v38, v40, v38
	v_cmp_neq_f64_e32 vcc_lo, v[14:15], v[2:3]
	s_wait_alu 0xfffd
	s_delay_alu instid0(VALU_DEP_2) | instskip(SKIP_1) | instid1(VALU_DEP_2)
	v_dual_cndmask_b32 v38, v15, v38 :: v_dual_cndmask_b32 v37, v14, v37
	v_cmp_neq_f64_e32 vcc_lo, 0, v[0:1]
	v_cmp_neq_f64_e64 s3, 0, v[37:38]
	s_and_b32 s3, vcc_lo, s3
	s_delay_alu instid0(SALU_CYCLE_1)
	s_and_saveexec_b32 s23, s3
	s_cbranch_execz .LBB0_7
; %bb.17:                               ;   in Loop: Header=BB0_10 Depth=1
	s_clause 0x1
	global_load_b128 v[39:42], v[10:11], off
	global_load_b64 v[43:44], v[10:11], off offset:16
	s_clause 0x1
	s_load_b512 s[4:19], s[28:29], 0x0
	s_load_b64 s[24:25], s[28:29], 0x40
	s_load_b128 s[36:39], s[46:47], 0x10
	s_mov_b32 s3, exec_lo
	s_wait_loadcnt 0x1
	v_add_f64_e64 v[2:3], v[16:17], -v[39:40]
	v_add_f64_e64 v[45:46], v[18:19], -v[41:42]
	s_wait_loadcnt 0x0
	v_add_f64_e64 v[49:50], v[12:13], -v[43:44]
	s_wait_kmcnt 0x0
	s_delay_alu instid0(VALU_DEP_3) | instskip(SKIP_2) | instid1(VALU_DEP_3)
	v_fma_f64 v[39:40], v[2:3], s[4:5], 0
	v_fma_f64 v[41:42], v[2:3], s[10:11], 0
	;; [unrolled: 1-line block ×4, first 2 shown]
	s_delay_alu instid0(VALU_DEP_3) | instskip(NEXT) | instid1(VALU_DEP_3)
	v_fma_f64 v[41:42], v[45:46], s[12:13], v[41:42]
	v_fma_f64 v[43:44], v[45:46], s[18:19], v[43:44]
	s_delay_alu instid0(VALU_DEP_3) | instskip(NEXT) | instid1(VALU_DEP_3)
	v_fma_f64 v[39:40], v[49:50], s[8:9], v[39:40]
	v_fma_f64 v[41:42], v[49:50], s[14:15], v[41:42]
	s_load_b512 s[4:19], s[38:39], 0x0
	s_delay_alu instid0(VALU_DEP_3) | instskip(NEXT) | instid1(VALU_DEP_3)
	v_fma_f64 v[43:44], v[49:50], s[24:25], v[43:44]
	v_rndne_f64_e32 v[39:40], v[39:40]
	s_delay_alu instid0(VALU_DEP_3) | instskip(NEXT) | instid1(VALU_DEP_3)
	v_rndne_f64_e32 v[41:42], v[41:42]
	v_rndne_f64_e32 v[54:55], v[43:44]
	s_wait_kmcnt 0x0
	s_delay_alu instid0(VALU_DEP_3) | instskip(SKIP_3) | instid1(VALU_DEP_3)
	v_fma_f64 v[47:48], v[39:40], s[10:11], 0
	v_fma_f64 v[52:53], v[39:40], s[4:5], 0
	;; [unrolled: 1-line block ×3, first 2 shown]
	s_load_b64 s[4:5], s[38:39], 0x40
	v_fma_f64 v[43:44], v[41:42], s[12:13], v[47:48]
	s_delay_alu instid0(VALU_DEP_3) | instskip(NEXT) | instid1(VALU_DEP_3)
	v_fma_f64 v[47:48], v[41:42], s[6:7], v[52:53]
	v_fma_f64 v[39:40], v[41:42], s[18:19], v[39:40]
	s_delay_alu instid0(VALU_DEP_3) | instskip(NEXT) | instid1(VALU_DEP_3)
	v_fma_f64 v[43:44], v[54:55], s[14:15], v[43:44]
	v_fma_f64 v[47:48], v[54:55], s[8:9], v[47:48]
	s_wait_kmcnt 0x0
	s_delay_alu instid0(VALU_DEP_3) | instskip(NEXT) | instid1(VALU_DEP_3)
	v_fma_f64 v[39:40], v[54:55], s[4:5], v[39:40]
	v_add_f64_e64 v[41:42], v[45:46], -v[43:44]
	s_delay_alu instid0(VALU_DEP_3) | instskip(NEXT) | instid1(VALU_DEP_3)
	v_add_f64_e64 v[43:44], v[2:3], -v[47:48]
	v_add_f64_e64 v[39:40], v[49:50], -v[39:40]
	s_delay_alu instid0(VALU_DEP_3) | instskip(NEXT) | instid1(VALU_DEP_1)
	v_mul_f64_e32 v[47:48], v[41:42], v[41:42]
	v_fma_f64 v[47:48], v[43:44], v[43:44], v[47:48]
	s_delay_alu instid0(VALU_DEP_1) | instskip(NEXT) | instid1(VALU_DEP_1)
	v_fma_f64 v[47:48], v[39:40], v[39:40], v[47:48]
	v_cmpx_nle_f64_e32 0, v[47:48]
	s_cbranch_execz .LBB0_19
; %bb.18:                               ;   in Loop: Header=BB0_10 Depth=1
	v_mul_f64_e32 v[39:40], v[45:46], v[45:46]
	v_dual_mov_b32 v44, v3 :: v_dual_mov_b32 v43, v2
	v_dual_mov_b32 v41, v45 :: v_dual_mov_b32 v42, v46
	s_delay_alu instid0(VALU_DEP_3) | instskip(NEXT) | instid1(VALU_DEP_1)
	v_fma_f64 v[39:40], v[2:3], v[2:3], v[39:40]
	v_fma_f64 v[47:48], v[49:50], v[49:50], v[39:40]
	v_dual_mov_b32 v39, v49 :: v_dual_mov_b32 v40, v50
.LBB0_19:                               ;   in Loop: Header=BB0_10 Depth=1
	s_or_b32 exec_lo, exec_lo, s3
	s_delay_alu instid0(VALU_DEP_2) | instskip(SKIP_2) | instid1(VALU_DEP_1)
	v_cmp_gt_f64_e32 vcc_lo, 0x10000000, v[47:48]
	s_load_b128 s[4:7], s[46:47], 0x10
	v_cndmask_b32_e64 v2, 0, 0x100, vcc_lo
	v_ldexp_f64 v[2:3], v[47:48], v2
	s_delay_alu instid0(VALU_DEP_1) | instskip(NEXT) | instid1(TRANS32_DEP_1)
	v_rsq_f64_e32 v[45:46], v[2:3]
	v_mul_f64_e32 v[49:50], v[2:3], v[45:46]
	v_mul_f64_e32 v[45:46], 0.5, v[45:46]
	s_delay_alu instid0(VALU_DEP_1) | instskip(NEXT) | instid1(VALU_DEP_1)
	v_fma_f64 v[52:53], -v[45:46], v[49:50], 0.5
	v_fma_f64 v[49:50], v[49:50], v[52:53], v[49:50]
	v_fma_f64 v[45:46], v[45:46], v[52:53], v[45:46]
	s_delay_alu instid0(VALU_DEP_2) | instskip(NEXT) | instid1(VALU_DEP_1)
	v_fma_f64 v[52:53], -v[49:50], v[49:50], v[2:3]
	v_fma_f64 v[49:50], v[52:53], v[45:46], v[49:50]
	s_delay_alu instid0(VALU_DEP_1) | instskip(NEXT) | instid1(VALU_DEP_1)
	v_fma_f64 v[52:53], -v[49:50], v[49:50], v[2:3]
	v_fma_f64 v[45:46], v[52:53], v[45:46], v[49:50]
	v_cndmask_b32_e64 v49, 0, 0xffffff80, vcc_lo
	v_cmp_class_f64_e64 vcc_lo, v[2:3], 0x260
	s_delay_alu instid0(VALU_DEP_2) | instskip(SKIP_1) | instid1(VALU_DEP_1)
	v_ldexp_f64 v[45:46], v[45:46], v49
	s_wait_alu 0xfffd
	v_dual_cndmask_b32 v3, v46, v3 :: v_dual_cndmask_b32 v2, v45, v2
	s_wait_kmcnt 0x0
	s_delay_alu instid0(VALU_DEP_1)
	v_cmp_ge_f64_e32 vcc_lo, s[4:5], v[2:3]
	s_and_saveexec_b32 s4, vcc_lo
	s_cbranch_execz .LBB0_6
; %bb.20:                               ;   in Loop: Header=BB0_10 Depth=1
	v_mul_f64_e32 v[0:1], v[0:1], v[0:1]
	v_mul_f64_e32 v[2:3], v[47:48], v[47:48]
	;; [unrolled: 1-line block ×3, first 2 shown]
	s_delay_alu instid0(VALU_DEP_3) | instskip(NEXT) | instid1(VALU_DEP_3)
	v_mul_f64_e32 v[45:46], v[0:1], v[0:1]
	v_mul_f64_e32 v[2:3], v[47:48], v[2:3]
	s_delay_alu instid0(VALU_DEP_2) | instskip(NEXT) | instid1(VALU_DEP_2)
	v_mul_f64_e32 v[0:1], v[0:1], v[45:46]
	v_mul_f64_e32 v[45:46], v[2:3], v[2:3]
	s_delay_alu instid0(VALU_DEP_2) | instskip(NEXT) | instid1(VALU_DEP_2)
	v_mul_f64_e32 v[49:50], v[0:1], v[0:1]
	v_mul_f64_e32 v[45:46], v[47:48], v[45:46]
	;; [unrolled: 1-line block ×3, first 2 shown]
	s_delay_alu instid0(VALU_DEP_3) | instskip(NEXT) | instid1(VALU_DEP_2)
	v_add_f64_e32 v[49:50], v[49:50], v[49:50]
	v_div_scale_f64 v[54:55], null, v[47:48], v[47:48], v[0:1]
	s_delay_alu instid0(VALU_DEP_2) | instskip(NEXT) | instid1(VALU_DEP_2)
	v_div_scale_f64 v[52:53], null, v[45:46], v[45:46], v[49:50]
	v_rcp_f64_e32 v[56:57], v[54:55]
	v_div_scale_f64 v[64:65], vcc_lo, v[49:50], v[45:46], v[49:50]
	s_delay_alu instid0(VALU_DEP_2) | instskip(NEXT) | instid1(TRANS32_DEP_2)
	v_rcp_f64_e32 v[2:3], v[52:53]
	v_fma_f64 v[60:61], -v[54:55], v[56:57], 1.0
	s_delay_alu instid0(TRANS32_DEP_1) | instskip(NEXT) | instid1(VALU_DEP_2)
	v_fma_f64 v[58:59], -v[52:53], v[2:3], 1.0
	v_fma_f64 v[56:57], v[56:57], v[60:61], v[56:57]
	s_delay_alu instid0(VALU_DEP_2) | instskip(SKIP_3) | instid1(VALU_DEP_2)
	v_fma_f64 v[58:59], v[2:3], v[58:59], v[2:3]
	global_load_b64 v[2:3], v[10:11], off offset:48
	v_fma_f64 v[62:63], -v[54:55], v[56:57], 1.0
	v_fma_f64 v[60:61], -v[52:53], v[58:59], 1.0
	v_fma_f64 v[56:57], v[56:57], v[62:63], v[56:57]
	s_delay_alu instid0(VALU_DEP_2) | instskip(SKIP_1) | instid1(VALU_DEP_2)
	v_fma_f64 v[58:59], v[58:59], v[60:61], v[58:59]
	v_div_scale_f64 v[60:61], s3, v[0:1], v[47:48], v[0:1]
	v_mul_f64_e32 v[62:63], v[64:65], v[58:59]
	s_delay_alu instid0(VALU_DEP_2) | instskip(NEXT) | instid1(VALU_DEP_2)
	v_mul_f64_e32 v[66:67], v[60:61], v[56:57]
	v_fma_f64 v[52:53], -v[52:53], v[62:63], v[64:65]
	s_delay_alu instid0(VALU_DEP_2) | instskip(SKIP_1) | instid1(VALU_DEP_2)
	v_fma_f64 v[54:55], -v[54:55], v[66:67], v[60:61]
	s_wait_alu 0xfffd
	v_div_fmas_f64 v[52:53], v[52:53], v[58:59], v[62:63]
	s_mov_b32 vcc_lo, s3
	s_mov_b32 s3, 0
	s_wait_alu 0xfffe
	s_delay_alu instid0(VALU_DEP_2) | instskip(NEXT) | instid1(VALU_DEP_2)
	v_div_fmas_f64 v[54:55], v[54:55], v[56:57], v[66:67]
	v_div_fixup_f64 v[45:46], v[52:53], v[45:46], v[49:50]
	s_delay_alu instid0(VALU_DEP_2) | instskip(NEXT) | instid1(VALU_DEP_1)
	v_div_fixup_f64 v[0:1], v[54:55], v[47:48], v[0:1]
	v_add_f64_e64 v[45:46], v[45:46], -v[0:1]
	v_mul_f64_e32 v[0:1], v[37:38], v[43:44]
	s_delay_alu instid0(VALU_DEP_1)
	v_mul_f64_e32 v[43:44], v[45:46], v[0:1]
.LBB0_21:                               ;   Parent Loop BB0_10 Depth=1
                                        ; =>  This Inner Loop Header: Depth=2
	s_wait_loadcnt 0x0
	s_delay_alu instid0(VALU_DEP_1)
	v_add_f64_e64 v[0:1], v[2:3], -v[43:44]
	global_atomic_cmpswap_b64 v[0:1], v[10:11], v[0:3], off offset:48 th:TH_ATOMIC_RETURN scope:SCOPE_DEV
	s_wait_loadcnt 0x0
	v_cmp_eq_u64_e32 vcc_lo, v[0:1], v[2:3]
	v_dual_mov_b32 v3, v1 :: v_dual_mov_b32 v2, v0
	s_or_b32 s3, vcc_lo, s3
	s_delay_alu instid0(SALU_CYCLE_1)
	s_and_not1_b32 exec_lo, exec_lo, s3
	s_cbranch_execnz .LBB0_21
; %bb.22:                               ;   in Loop: Header=BB0_10 Depth=1
	s_or_b32 exec_lo, exec_lo, s3
	global_load_b64 v[2:3], v[10:11], off offset:56
	v_mul_f64_e32 v[0:1], 0x40380000, v[41:42]
	s_mov_b32 s3, 0
	s_delay_alu instid0(VALU_DEP_1) | instskip(NEXT) | instid1(VALU_DEP_1)
	v_mul_f64_e32 v[0:1], v[37:38], v[0:1]
	v_mul_f64_e32 v[41:42], v[45:46], v[0:1]
.LBB0_23:                               ;   Parent Loop BB0_10 Depth=1
                                        ; =>  This Inner Loop Header: Depth=2
	s_wait_loadcnt 0x0
	s_delay_alu instid0(VALU_DEP_1)
	v_add_f64_e64 v[0:1], v[2:3], -v[41:42]
	global_atomic_cmpswap_b64 v[0:1], v[10:11], v[0:3], off offset:56 th:TH_ATOMIC_RETURN scope:SCOPE_DEV
	s_wait_loadcnt 0x0
	v_cmp_eq_u64_e32 vcc_lo, v[0:1], v[2:3]
	v_dual_mov_b32 v3, v1 :: v_dual_mov_b32 v2, v0
	s_or_b32 s3, vcc_lo, s3
	s_delay_alu instid0(SALU_CYCLE_1)
	s_and_not1_b32 exec_lo, exec_lo, s3
	s_cbranch_execnz .LBB0_23
; %bb.24:                               ;   in Loop: Header=BB0_10 Depth=1
	s_or_b32 exec_lo, exec_lo, s3
	global_load_b64 v[2:3], v[10:11], off offset:64
	v_mul_f64_e32 v[0:1], 0x40380000, v[39:40]
	s_mov_b32 s3, 0
	s_delay_alu instid0(VALU_DEP_1) | instskip(NEXT) | instid1(VALU_DEP_1)
	v_mul_f64_e32 v[0:1], v[37:38], v[0:1]
	v_mul_f64_e32 v[37:38], v[45:46], v[0:1]
.LBB0_25:                               ;   Parent Loop BB0_10 Depth=1
                                        ; =>  This Inner Loop Header: Depth=2
	s_wait_loadcnt 0x0
	s_delay_alu instid0(VALU_DEP_1)
	v_add_f64_e64 v[0:1], v[2:3], -v[37:38]
	global_atomic_cmpswap_b64 v[0:1], v[10:11], v[0:3], off offset:64 th:TH_ATOMIC_RETURN scope:SCOPE_DEV
	s_wait_loadcnt 0x0
	v_cmp_eq_u64_e32 vcc_lo, v[0:1], v[2:3]
	v_dual_mov_b32 v3, v1 :: v_dual_mov_b32 v2, v0
	s_or_b32 s3, vcc_lo, s3
	s_delay_alu instid0(SALU_CYCLE_1)
	s_and_not1_b32 exec_lo, exec_lo, s3
	s_cbranch_execnz .LBB0_25
; %bb.26:                               ;   in Loop: Header=BB0_10 Depth=1
	s_or_b32 exec_lo, exec_lo, s3
	v_add_f64_e32 v[6:7], v[6:7], v[41:42]
	v_add_f64_e32 v[8:9], v[8:9], v[43:44]
	;; [unrolled: 1-line block ×3, first 2 shown]
	s_branch .LBB0_6
.LBB0_27:
	s_or_b32 exec_lo, exec_lo, s20
.LBB0_28:
	s_wait_alu 0xfffe
	s_or_b32 exec_lo, exec_lo, s0
	global_load_b64 v[2:3], v[32:33], off offset:48
	s_mov_b32 s0, 0
.LBB0_29:                               ; =>This Inner Loop Header: Depth=1
	s_wait_loadcnt 0x0
	v_add_f64_e32 v[0:1], v[2:3], v[8:9]
	global_atomic_cmpswap_b64 v[0:1], v[32:33], v[0:3], off offset:48 th:TH_ATOMIC_RETURN scope:SCOPE_DEV
	s_wait_loadcnt 0x0
	v_cmp_eq_u64_e32 vcc_lo, v[0:1], v[2:3]
	v_dual_mov_b32 v3, v1 :: v_dual_mov_b32 v2, v0
	s_wait_alu 0xfffe
	s_or_b32 s0, vcc_lo, s0
	s_wait_alu 0xfffe
	s_and_not1_b32 exec_lo, exec_lo, s0
	s_cbranch_execnz .LBB0_29
; %bb.30:
	s_or_b32 exec_lo, exec_lo, s0
	global_load_b64 v[2:3], v[32:33], off offset:56
	s_mov_b32 s0, 0
.LBB0_31:                               ; =>This Inner Loop Header: Depth=1
	s_wait_loadcnt 0x0
	v_add_f64_e32 v[0:1], v[2:3], v[6:7]
	global_atomic_cmpswap_b64 v[0:1], v[32:33], v[0:3], off offset:56 th:TH_ATOMIC_RETURN scope:SCOPE_DEV
	s_wait_loadcnt 0x0
	v_cmp_eq_u64_e32 vcc_lo, v[0:1], v[2:3]
	v_dual_mov_b32 v3, v1 :: v_dual_mov_b32 v2, v0
	s_wait_alu 0xfffe
	s_or_b32 s0, vcc_lo, s0
	s_wait_alu 0xfffe
	s_and_not1_b32 exec_lo, exec_lo, s0
	s_cbranch_execnz .LBB0_31
; %bb.32:
	;; [unrolled: 16-line block ×3, first 2 shown]
	s_or_b32 exec_lo, exec_lo, s0
	s_add_co_i32 s0, s30, -1
	s_wait_alu 0xfffe
	s_cmp_gt_u32 s0, 1
	s_cbranch_scc1 .LBB0_3
.LBB0_35:
	s_cmp_lt_i32 s33, 1
	s_mov_b32 s53, 0
	s_cbranch_scc1 .LBB0_83
; %bb.36:
	s_clause 0x1
	s_load_b128 s[0:3], s[46:47], 0x10
	s_load_b128 s[24:27], s[46:47], 0x30
	s_wait_loadcnt 0x2
	v_cmp_ne_u32_e64 s31, 0, v35
	s_mov_b32 s54, 0x652b82fe
	s_mov_b32 s56, 0xfefa39ef
	;; [unrolled: 1-line block ×17, first 2 shown]
	s_wait_kmcnt 0x0
	s_clause 0x1
	s_load_b512 s[4:19], s[2:3], 0x0
	s_load_b64 s[0:1], s[2:3], 0x40
	v_mul_f64_e64 v[14:15], s[24:25], -s[24:25]
	s_cmp_lg_u32 s27, 0
	v_cmp_neq_f64_e64 s27, 0, v[22:23]
	s_cselect_b32 s42, -1, 0
	s_cmp_gt_i32 s26, -1
	s_mov_b32 s88, 0x9037ab78
	s_mov_b32 s90, 0x46cc5e42
	;; [unrolled: 1-line block ×13, first 2 shown]
	s_wait_kmcnt 0x0
	v_mul_f64_e64 v[2:3], s[18:19], s[14:15]
	v_mul_f64_e64 v[0:1], s[0:1], s[6:7]
	;; [unrolled: 1-line block ×3, first 2 shown]
	s_mov_b32 s63, 0x3e5ade15
	s_mov_b32 s65, 0x3ec71dee
	;; [unrolled: 1-line block ×22, first 2 shown]
	s_cselect_b32 s43, -1, 0
	s_sub_co_i32 s45, 0, s26
	s_mov_b32 s21, 0x3ff921fb
	s_mov_b32 s23, 0x3c91a626
	;; [unrolled: 1-line block ×6, first 2 shown]
	s_delay_alu instid0(VALU_DEP_3) | instskip(NEXT) | instid1(VALU_DEP_3)
	v_fma_f64 v[2:3], s[12:13], s[0:1], -v[2:3]
	v_fma_f64 v[0:1], s[18:19], s[8:9], -v[0:1]
	s_delay_alu instid0(VALU_DEP_3)
	v_fma_f64 v[4:5], s[14:15], s[6:7], -v[4:5]
	s_mov_b32 s1, 0x402921fb
	v_writelane_b32 v81, s0, 6
	s_wait_alu 0xfffe
	v_writelane_b32 v81, s1, 7
	s_mov_b32 s1, 0xbff921fb
	s_delay_alu instid0(VALU_DEP_4) | instskip(NEXT) | instid1(VALU_DEP_1)
	v_mul_f64_e32 v[0:1], s[10:11], v[0:1]
	v_fma_f64 v[0:1], s[4:5], v[2:3], v[0:1]
	s_delay_alu instid0(VALU_DEP_1) | instskip(NEXT) | instid1(VALU_DEP_1)
	v_fma_f64 v[37:38], s[16:17], v[4:5], v[0:1]
	v_div_scale_f64 v[0:1], null, v[37:38], v[37:38], 1.0
	v_div_scale_f64 v[6:7], vcc_lo, 1.0, v[37:38], 1.0
	s_delay_alu instid0(VALU_DEP_2) | instskip(NEXT) | instid1(TRANS32_DEP_1)
	v_rcp_f64_e32 v[2:3], v[0:1]
	v_fma_f64 v[4:5], -v[0:1], v[2:3], 1.0
	s_delay_alu instid0(VALU_DEP_1) | instskip(NEXT) | instid1(VALU_DEP_1)
	v_fma_f64 v[2:3], v[2:3], v[4:5], v[2:3]
	v_fma_f64 v[4:5], -v[0:1], v[2:3], 1.0
	s_delay_alu instid0(VALU_DEP_1) | instskip(NEXT) | instid1(VALU_DEP_1)
	v_fma_f64 v[2:3], v[2:3], v[4:5], v[2:3]
	v_mul_f64_e32 v[4:5], v[6:7], v[2:3]
	s_delay_alu instid0(VALU_DEP_1) | instskip(SKIP_1) | instid1(VALU_DEP_1)
	v_fma_f64 v[0:1], -v[0:1], v[4:5], v[6:7]
	v_mov_b32_e32 v6, 0
	v_dual_mov_b32 v7, v6 :: v_dual_mov_b32 v8, v6
	v_dual_mov_b32 v9, v6 :: v_dual_mov_b32 v10, v6
	v_mov_b32_e32 v11, v6
	s_wait_alu 0xfffd
	v_div_fmas_f64 v[39:40], v[0:1], v[2:3], v[4:5]
	v_dual_mov_b32 v0, v6 :: v_dual_mov_b32 v1, v7
	v_dual_mov_b32 v2, v8 :: v_dual_mov_b32 v3, v9
	;; [unrolled: 1-line block ×3, first 2 shown]
	v_mul_f64_e64 v[7:8], s[24:25], 4.0
	v_cmp_eq_f64_e32 vcc_lo, 0, v[22:23]
	v_div_fixup_f64 v[37:38], v[39:40], v[37:38], 1.0
	s_delay_alu instid0(VALU_DEP_3)
	v_mul_f64_e32 v[20:21], s[24:25], v[7:8]
	s_xor_b32 s44, vcc_lo, -1
	s_branch .LBB0_40
.LBB0_37:                               ;   in Loop: Header=BB0_40 Depth=1
	s_wait_alu 0xfffe
	s_or_b32 exec_lo, exec_lo, vcc_hi
.LBB0_38:                               ;   in Loop: Header=BB0_40 Depth=1
	s_delay_alu instid0(SALU_CYCLE_1)
	s_or_b32 exec_lo, exec_lo, s104
.LBB0_39:                               ;   in Loop: Header=BB0_40 Depth=1
	s_wait_alu 0xfffe
	s_or_b32 exec_lo, exec_lo, s41
	s_add_co_i32 s40, s40, 1
	s_wait_alu 0xfffe
	s_cmp_eq_u32 s40, s33
	s_cbranch_scc1 .LBB0_84
.LBB0_40:                               ; =>This Loop Header: Depth=1
                                        ;     Child Loop BB0_53 Depth 2
                                        ;     Child Loop BB0_55 Depth 2
                                        ;     Child Loop BB0_57 Depth 2
                                        ;     Child Loop BB0_64 Depth 2
                                        ;       Child Loop BB0_67 Depth 3
                                        ;         Child Loop BB0_69 Depth 4
                                        ;           Child Loop BB0_75 Depth 5
                                        ;       Child Loop BB0_81 Depth 3
	s_mov_b32 s0, 0
	s_and_saveexec_b32 s4, s31
	s_wait_alu 0xfffe
	s_xor_b32 s4, exec_lo, s4
	s_cbranch_execz .LBB0_42
; %bb.41:                               ;   in Loop: Header=BB0_40 Depth=1
	s_load_b64 s[8:9], s[46:47], 0x0
	s_mov_b32 s41, s53
	s_wait_alu 0xfffe
	s_mul_u64 s[6:7], s[40:41], 0x70
	s_wait_kmcnt 0x0
	s_wait_alu 0xfffe
	s_add_nc_u64 s[6:7], s[8:9], s[6:7]
	global_load_b32 v7, v6, s[6:7] offset:76
	s_wait_loadcnt 0x0
	v_cmp_eq_u32_e32 vcc_lo, 0, v7
	s_and_b32 s0, vcc_lo, s44
	s_wait_alu 0xfffe
	s_and_b32 s0, s0, exec_lo
.LBB0_42:                               ;   in Loop: Header=BB0_40 Depth=1
	s_wait_alu 0xfffe
	s_or_saveexec_b32 s4, s4
	v_dual_mov_b32 v7, s40 :: v_dual_mov_b32 v8, s41
	s_wait_alu 0xfffe
	s_xor_b32 exec_lo, exec_lo, s4
	s_cbranch_execz .LBB0_46
; %bb.43:                               ;   in Loop: Header=BB0_40 Depth=1
	s_mov_b32 s5, s0
	s_and_saveexec_b32 s6, s27
; %bb.44:                               ;   in Loop: Header=BB0_40 Depth=1
	s_mov_b32 s41, s53
	s_or_b32 s5, s0, exec_lo
; %bb.45:                               ;   in Loop: Header=BB0_40 Depth=1
	s_wait_alu 0xfffe
	s_or_b32 exec_lo, exec_lo, s6
	v_dual_mov_b32 v7, s40 :: v_dual_mov_b32 v8, s41
	s_and_not1_b32 s0, s0, exec_lo
	s_and_b32 s5, s5, exec_lo
	s_wait_alu 0xfffe
	s_or_b32 s0, s0, s5
.LBB0_46:                               ;   in Loop: Header=BB0_40 Depth=1
	s_or_b32 exec_lo, exec_lo, s4
	s_wait_alu 0xfffe
	s_and_saveexec_b32 s41, s0
	s_cbranch_execz .LBB0_39
; %bb.47:                               ;   in Loop: Header=BB0_40 Depth=1
	s_load_b64 s[4:5], s[46:47], 0x0
	s_wait_kmcnt 0x0
	v_mad_co_u64_u32 v[39:40], null, 0x70, v7, s[4:5]
	v_cmp_ne_u32_e64 s4, s40, v36
	s_delay_alu instid0(VALU_DEP_2) | instskip(NEXT) | instid1(VALU_DEP_1)
	v_mov_b32_e32 v7, v40
	v_mad_co_u64_u32 v[7:8], null, 0x70, v8, v[7:8]
	s_delay_alu instid0(VALU_DEP_1)
	v_mov_b32_e32 v40, v7
	global_load_b64 v[7:8], v[39:40], off offset:40
	s_wait_loadcnt 0x0
	v_cmp_neq_f64_e32 vcc_lo, 0, v[7:8]
	s_and_b32 s0, s4, vcc_lo
	s_wait_alu 0xfffe
	s_and_saveexec_b32 s104, s0
	s_cbranch_execz .LBB0_38
; %bb.48:                               ;   in Loop: Header=BB0_40 Depth=1
	s_clause 0x1
	global_load_b128 v[41:44], v[39:40], off
	global_load_b64 v[9:10], v[39:40], off offset:16
	s_load_b512 s[4:19], s[28:29], 0x0
	s_load_b128 s[48:51], s[46:47], 0x10
                                        ; implicit-def: $vgpr80 : SGPR spill to VGPR lane
	s_mov_b32 s0, exec_lo
	s_wait_kmcnt 0x0
	v_writelane_b32 v81, s4, 8
	v_writelane_b32 v81, s5, 9
	;; [unrolled: 1-line block ×16, first 2 shown]
	s_wait_loadcnt 0x1
	v_add_f64_e64 v[47:48], v[16:17], -v[41:42]
	v_add_f64_e64 v[49:50], v[18:19], -v[43:44]
	s_wait_loadcnt 0x0
	v_add_f64_e64 v[51:52], v[12:13], -v[9:10]
	s_delay_alu instid0(VALU_DEP_3) | instskip(SKIP_1) | instid1(VALU_DEP_2)
	v_fma_f64 v[41:42], v[47:48], s[4:5], 0
	v_fma_f64 v[9:10], v[47:48], s[10:11], 0
	v_fma_f64 v[41:42], v[49:50], s[6:7], v[41:42]
	s_delay_alu instid0(VALU_DEP_2) | instskip(NEXT) | instid1(VALU_DEP_2)
	v_fma_f64 v[9:10], v[49:50], s[12:13], v[9:10]
	v_fma_f64 v[41:42], v[51:52], s[8:9], v[41:42]
	s_delay_alu instid0(VALU_DEP_2) | instskip(SKIP_1) | instid1(VALU_DEP_2)
	v_fma_f64 v[9:10], v[51:52], s[14:15], v[9:10]
	s_load_b512 s[4:19], s[50:51], 0x0
	v_rndne_f64_e32 v[41:42], v[41:42]
	s_delay_alu instid0(VALU_DEP_2) | instskip(SKIP_1) | instid1(VALU_DEP_2)
	v_rndne_f64_e32 v[9:10], v[9:10]
	s_wait_kmcnt 0x0
	v_fma_f64 v[43:44], v[41:42], s[10:11], 0
	v_fma_f64 v[45:46], v[41:42], s[4:5], 0
	;; [unrolled: 1-line block ×3, first 2 shown]
	s_delay_alu instid0(VALU_DEP_3) | instskip(NEXT) | instid1(VALU_DEP_3)
	v_fma_f64 v[43:44], v[9:10], s[12:13], v[43:44]
	v_fma_f64 v[45:46], v[9:10], s[6:7], v[45:46]
	s_delay_alu instid0(VALU_DEP_3)
	v_fma_f64 v[9:10], v[9:10], s[18:19], v[41:42]
	v_writelane_b32 v81, s4, 24
	v_writelane_b32 v80, s12, 0
	;; [unrolled: 1-line block ×16, first 2 shown]
	s_delay_alu instid0(VALU_DEP_2)
	v_readlane_b32 s4, v81, 8
	v_readlane_b32 s16, v81, 20
	;; [unrolled: 1-line block ×7, first 2 shown]
	s_wait_alu 0xf1ff
	v_fma_f64 v[41:42], v[47:48], s[16:17], 0
	v_readlane_b32 s9, v81, 13
	v_readlane_b32 s10, v81, 14
	;; [unrolled: 1-line block ×13, first 2 shown]
	s_load_b64 s[4:5], s[28:29], 0x40
	v_readlane_b32 s6, v81, 10
	v_readlane_b32 s7, v81, 11
	;; [unrolled: 1-line block ×12, first 2 shown]
	v_fma_f64 v[41:42], v[49:50], s[18:19], v[41:42]
	s_wait_kmcnt 0x0
	s_delay_alu instid0(VALU_DEP_1)
	v_fma_f64 v[41:42], v[51:52], s[4:5], v[41:42]
	v_readlane_b32 s4, v81, 24
	v_readlane_b32 s14, v80, 2
	;; [unrolled: 1-line block ×4, first 2 shown]
	s_load_b64 s[4:5], s[50:51], 0x40
	v_readlane_b32 s8, v81, 28
	v_readlane_b32 s9, v81, 29
	;; [unrolled: 1-line block ×12, first 2 shown]
	v_rndne_f64_e32 v[41:42], v[41:42]
	s_delay_alu instid0(VALU_DEP_1) | instskip(SKIP_4) | instid1(VALU_DEP_3)
	v_fma_f64 v[43:44], v[41:42], s[14:15], v[43:44]
	s_wait_alu 0xf1ff
	v_fma_f64 v[45:46], v[41:42], s[8:9], v[45:46]
	s_wait_kmcnt 0x0
	v_fma_f64 v[9:10], v[41:42], s[4:5], v[9:10]
	v_add_f64_e64 v[43:44], v[49:50], -v[43:44]
	s_delay_alu instid0(VALU_DEP_3) | instskip(NEXT) | instid1(VALU_DEP_3)
	v_add_f64_e64 v[41:42], v[47:48], -v[45:46]
	v_add_f64_e64 v[45:46], v[51:52], -v[9:10]
	s_delay_alu instid0(VALU_DEP_3) | instskip(NEXT) | instid1(VALU_DEP_1)
	v_mul_f64_e32 v[9:10], v[43:44], v[43:44]
	v_fma_f64 v[9:10], v[41:42], v[41:42], v[9:10]
	s_delay_alu instid0(VALU_DEP_1) | instskip(NEXT) | instid1(VALU_DEP_1)
	v_fma_f64 v[9:10], v[45:46], v[45:46], v[9:10]
	v_cmpx_nle_f64_e32 0, v[9:10]
	s_cbranch_execz .LBB0_50
; %bb.49:                               ;   in Loop: Header=BB0_40 Depth=1
	v_mul_f64_e32 v[9:10], v[49:50], v[49:50]
	v_dual_mov_b32 v41, v47 :: v_dual_mov_b32 v42, v48
	v_dual_mov_b32 v43, v49 :: v_dual_mov_b32 v44, v50
	;; [unrolled: 1-line block ×3, first 2 shown]
	s_delay_alu instid0(VALU_DEP_4) | instskip(NEXT) | instid1(VALU_DEP_1)
	v_fma_f64 v[9:10], v[47:48], v[47:48], v[9:10]
	v_fma_f64 v[9:10], v[51:52], v[51:52], v[9:10]
.LBB0_50:                               ;   in Loop: Header=BB0_40 Depth=1
	s_or_b32 exec_lo, exec_lo, s0
	s_delay_alu instid0(VALU_DEP_1) | instskip(SKIP_3) | instid1(VALU_DEP_1)
	v_cmp_gt_f64_e32 vcc_lo, 0x10000000, v[9:10]
	s_load_b128 s[4:7], s[46:47], 0x10
	s_mov_b32 s0, exec_lo
	v_cndmask_b32_e64 v11, 0, 0x100, vcc_lo
	v_ldexp_f64 v[47:48], v[9:10], v11
	v_cndmask_b32_e64 v11, 0, 0xffffff80, vcc_lo
	s_delay_alu instid0(VALU_DEP_2) | instskip(SKIP_1) | instid1(TRANS32_DEP_1)
	v_rsq_f64_e32 v[49:50], v[47:48]
	v_cmp_class_f64_e64 vcc_lo, v[47:48], 0x260
	v_mul_f64_e32 v[51:52], v[47:48], v[49:50]
	v_mul_f64_e32 v[49:50], 0.5, v[49:50]
	s_delay_alu instid0(VALU_DEP_1) | instskip(NEXT) | instid1(VALU_DEP_1)
	v_fma_f64 v[53:54], -v[49:50], v[51:52], 0.5
	v_fma_f64 v[51:52], v[51:52], v[53:54], v[51:52]
	v_fma_f64 v[49:50], v[49:50], v[53:54], v[49:50]
	s_delay_alu instid0(VALU_DEP_2) | instskip(NEXT) | instid1(VALU_DEP_1)
	v_fma_f64 v[53:54], -v[51:52], v[51:52], v[47:48]
	v_fma_f64 v[51:52], v[53:54], v[49:50], v[51:52]
	s_delay_alu instid0(VALU_DEP_1) | instskip(NEXT) | instid1(VALU_DEP_1)
	v_fma_f64 v[53:54], -v[51:52], v[51:52], v[47:48]
	v_fma_f64 v[49:50], v[53:54], v[49:50], v[51:52]
	s_delay_alu instid0(VALU_DEP_1) | instskip(SKIP_1) | instid1(VALU_DEP_1)
	v_ldexp_f64 v[49:50], v[49:50], v11
	s_wait_alu 0xfffd
	v_dual_cndmask_b32 v48, v50, v48 :: v_dual_cndmask_b32 v47, v49, v47
	s_wait_kmcnt 0x0
	s_delay_alu instid0(VALU_DEP_1)
	v_cmpx_ge_f64_e32 s[4:5], v[47:48]
	s_cbranch_execz .LBB0_60
; %bb.51:                               ;   in Loop: Header=BB0_40 Depth=1
	global_load_b32 v11, v[39:40], off offset:72
	s_mov_b32 s5, exec_lo
	s_wait_loadcnt 0x0
	v_cmpx_lt_i32_e64 v34, v11
	s_cbranch_execz .LBB0_59
; %bb.52:                               ;   in Loop: Header=BB0_40 Depth=1
	v_div_scale_f64 v[49:50], null, v[47:48], v[47:48], v[41:42]
	s_mov_b32 s6, 0x37cfa789
	s_mov_b32 s8, 0x54df3c0e
	;; [unrolled: 1-line block ×4, first 2 shown]
	v_mul_f64_e32 v[7:8], v[7:8], v[22:23]
	v_rcp_f64_e32 v[51:52], v[49:50]
	s_delay_alu instid0(TRANS32_DEP_1) | instskip(NEXT) | instid1(VALU_DEP_1)
	v_fma_f64 v[53:54], -v[49:50], v[51:52], 1.0
	v_fma_f64 v[51:52], v[51:52], v[53:54], v[51:52]
	s_delay_alu instid0(VALU_DEP_1) | instskip(NEXT) | instid1(VALU_DEP_1)
	v_fma_f64 v[53:54], -v[49:50], v[51:52], 1.0
	v_fma_f64 v[51:52], v[51:52], v[53:54], v[51:52]
	v_div_scale_f64 v[53:54], vcc_lo, v[41:42], v[47:48], v[41:42]
	s_delay_alu instid0(VALU_DEP_1) | instskip(NEXT) | instid1(VALU_DEP_1)
	v_mul_f64_e32 v[55:56], v[53:54], v[51:52]
	v_fma_f64 v[49:50], -v[49:50], v[55:56], v[53:54]
	s_wait_alu 0xfffd
	s_delay_alu instid0(VALU_DEP_1) | instskip(SKIP_1) | instid1(VALU_DEP_1)
	v_div_fmas_f64 v[51:52], v[49:50], v[51:52], v[55:56]
	v_mul_f64_e32 v[49:50], s[24:25], v[47:48]
	v_add_f64_e64 v[53:54], |v[49:50]|, 4.0
	s_delay_alu instid0(VALU_DEP_1) | instskip(NEXT) | instid1(TRANS32_DEP_1)
	v_rcp_f64_e32 v[55:56], v[53:54]
	v_fma_f64 v[57:58], -v[53:54], v[55:56], 1.0
	s_delay_alu instid0(VALU_DEP_1) | instskip(NEXT) | instid1(VALU_DEP_1)
	v_fma_f64 v[55:56], v[57:58], v[55:56], v[55:56]
	v_fma_f64 v[53:54], -v[53:54], v[55:56], 1.0
	s_delay_alu instid0(VALU_DEP_1) | instskip(SKIP_1) | instid1(VALU_DEP_1)
	v_fma_f64 v[53:54], v[53:54], v[55:56], v[55:56]
	v_add_f64_e64 v[55:56], |v[49:50]|, -4.0
	v_mul_f64_e32 v[55:56], v[55:56], v[53:54]
	s_delay_alu instid0(VALU_DEP_1) | instskip(NEXT) | instid1(VALU_DEP_1)
	v_add_f64_e32 v[57:58], 1.0, v[55:56]
	v_fma_f64 v[57:58], v[57:58], -4.0, |v[49:50]|
	s_delay_alu instid0(VALU_DEP_1) | instskip(NEXT) | instid1(VALU_DEP_1)
	v_fma_f64 v[57:58], -v[55:56], |v[49:50]|, v[57:58]
	v_fma_f64 v[53:54], v[53:54], v[57:58], v[55:56]
	v_add_f64_e64 v[55:56], |v[49:50]|, |v[49:50]|
	s_delay_alu instid0(VALU_DEP_1) | instskip(NEXT) | instid1(VALU_DEP_1)
	v_add_f64_e32 v[57:58], 1.0, v[55:56]
	v_rcp_f64_e32 v[59:60], v[57:58]
	s_delay_alu instid0(TRANS32_DEP_1) | instskip(NEXT) | instid1(VALU_DEP_1)
	v_fma_f64 v[61:62], -v[57:58], v[59:60], 1.0
	v_fma_f64 v[59:60], v[61:62], v[59:60], v[59:60]
	s_delay_alu instid0(VALU_DEP_1) | instskip(NEXT) | instid1(VALU_DEP_1)
	v_fma_f64 v[57:58], -v[57:58], v[59:60], 1.0
	v_fma_f64 v[57:58], v[57:58], v[59:60], v[59:60]
	s_wait_alu 0xfffe
	v_fma_f64 v[59:60], v[53:54], s[8:9], s[6:7]
	s_mov_b32 s6, 0xd9802b82
	s_mov_b32 s7, 0x3e7b45f1
	s_wait_alu 0xfffe
	s_delay_alu instid0(VALU_DEP_1) | instskip(SKIP_3) | instid1(VALU_DEP_1)
	v_fma_f64 v[59:60], v[53:54], v[59:60], s[6:7]
	s_mov_b32 s6, 0x8a03dcdb
	s_mov_b32 s7, 0x3e6d9048
	s_wait_alu 0xfffe
	v_fma_f64 v[59:60], v[53:54], v[59:60], s[6:7]
	s_mov_b32 s6, 0x2eba62d8
	s_mov_b32 s7, 0xbeab87b0
	s_wait_alu 0xfffe
	s_delay_alu instid0(VALU_DEP_1) | instskip(SKIP_3) | instid1(VALU_DEP_1)
	v_fma_f64 v[59:60], v[53:54], v[59:60], s[6:7]
	s_mov_b32 s6, 0xa56e15f1
	s_mov_b32 s7, 0x3e95104b
	;; [unrolled: 9-line block ×10, first 2 shown]
	s_wait_alu 0xfffe
	v_fma_f64 v[53:54], v[53:54], v[59:60], s[6:7]
	s_mov_b32 s6, 0x41e48bfc
	s_mov_b32 s7, 0x403b39dc
	s_delay_alu instid0(VALU_DEP_1) | instskip(NEXT) | instid1(VALU_DEP_1)
	v_fma_f64 v[59:60], v[53:54], v[57:58], v[57:58]
	v_fma_f64 v[55:56], -v[59:60], v[55:56], 1.0
	v_add_f64_e64 v[53:54], v[53:54], -v[59:60]
	s_delay_alu instid0(VALU_DEP_1) | instskip(SKIP_1) | instid1(VALU_DEP_2)
	v_add_f64_e32 v[53:54], v[55:56], v[53:54]
	v_mul_f64_e64 v[55:56], v[49:50], -v[49:50]
	v_fma_f64 v[53:54], v[57:58], v[53:54], v[59:60]
	s_delay_alu instid0(VALU_DEP_2) | instskip(SKIP_2) | instid1(VALU_DEP_3)
	v_mul_f64_e32 v[57:58], s[54:55], v[55:56]
	v_cmp_nlt_f64_e32 vcc_lo, 0x40900000, v[55:56]
	v_cmp_ngt_f64_e64 s4, 0xc090cc00, v[55:56]
	v_rndne_f64_e32 v[57:58], v[57:58]
	s_delay_alu instid0(VALU_DEP_1) | instskip(SKIP_2) | instid1(VALU_DEP_3)
	v_fma_f64 v[59:60], v[57:58], s[56:57], v[55:56]
	v_cvt_i32_f64_e32 v11, v[57:58]
	v_fma_f64 v[55:56], -v[49:50], v[49:50], -v[55:56]
	v_fma_f64 v[59:60], v[57:58], s[58:59], v[59:60]
	s_delay_alu instid0(VALU_DEP_1) | instskip(NEXT) | instid1(VALU_DEP_1)
	v_fma_f64 v[61:62], v[59:60], s[62:63], s[60:61]
	v_fma_f64 v[61:62], v[59:60], v[61:62], s[64:65]
	s_delay_alu instid0(VALU_DEP_1) | instskip(NEXT) | instid1(VALU_DEP_1)
	v_fma_f64 v[61:62], v[59:60], v[61:62], s[66:67]
	;; [unrolled: 3-line block ×5, first 2 shown]
	v_fma_f64 v[61:62], v[59:60], v[61:62], 1.0
	s_delay_alu instid0(VALU_DEP_1) | instskip(NEXT) | instid1(VALU_DEP_1)
	v_fma_f64 v[59:60], v[59:60], v[61:62], 1.0
	v_ldexp_f64 v[57:58], v[59:60], v11
	s_wait_alu 0xfffd
	s_delay_alu instid0(VALU_DEP_1) | instskip(SKIP_2) | instid1(VALU_DEP_2)
	v_cndmask_b32_e32 v11, 0x7ff00000, v58, vcc_lo
	s_and_b32 vcc_lo, s4, vcc_lo
	s_wait_alu 0xfffe
	v_cndmask_b32_e32 v57, 0, v57, vcc_lo
	v_cmp_ngt_f64_e64 vcc_lo, |v[49:50]|, s[6:7]
	v_cndmask_b32_e64 v58, 0, v11, s4
	s_mov_b32 s6, 0x91b4ef6a
	s_mov_b32 s7, 0x3ffc5bf8
	s_delay_alu instid0(VALU_DEP_1) | instskip(NEXT) | instid1(VALU_DEP_1)
	v_fma_f64 v[55:56], v[57:58], v[55:56], v[57:58]
	v_mul_f64_e32 v[53:54], v[55:56], v[53:54]
	s_wait_alu 0xfffd
	s_delay_alu instid0(VALU_DEP_1) | instskip(SKIP_1) | instid1(VALU_DEP_2)
	v_dual_cndmask_b32 v54, 0, v54 :: v_dual_cndmask_b32 v53, 0, v53
	v_cmp_gt_f64_e32 vcc_lo, 0, v[49:50]
	v_add_f64_e64 v[55:56], -v[53:54], 2.0
	s_wait_alu 0xfffd
	s_delay_alu instid0(VALU_DEP_1) | instskip(SKIP_1) | instid1(VALU_DEP_1)
	v_dual_cndmask_b32 v50, v54, v56 :: v_dual_cndmask_b32 v49, v53, v55
	v_mul_f64_e32 v[53:54], v[14:15], v[9:10]
	v_mul_f64_e32 v[55:56], s[54:55], v[53:54]
	v_cmp_nlt_f64_e32 vcc_lo, 0x40900000, v[53:54]
	v_cmp_ngt_f64_e64 s4, 0xc090cc00, v[53:54]
	s_delay_alu instid0(VALU_DEP_3) | instskip(NEXT) | instid1(VALU_DEP_1)
	v_rndne_f64_e32 v[55:56], v[55:56]
	v_fma_f64 v[57:58], v[55:56], s[56:57], v[53:54]
	v_cvt_i32_f64_e32 v11, v[55:56]
	s_delay_alu instid0(VALU_DEP_2) | instskip(NEXT) | instid1(VALU_DEP_1)
	v_fma_f64 v[57:58], v[55:56], s[58:59], v[57:58]
	v_fma_f64 v[59:60], v[57:58], s[62:63], s[60:61]
	s_delay_alu instid0(VALU_DEP_1) | instskip(NEXT) | instid1(VALU_DEP_1)
	v_fma_f64 v[59:60], v[57:58], v[59:60], s[64:65]
	v_fma_f64 v[59:60], v[57:58], v[59:60], s[66:67]
	s_delay_alu instid0(VALU_DEP_1) | instskip(NEXT) | instid1(VALU_DEP_1)
	;; [unrolled: 3-line block ×5, first 2 shown]
	v_fma_f64 v[59:60], v[57:58], v[59:60], 1.0
	v_fma_f64 v[57:58], v[57:58], v[59:60], 1.0
	s_delay_alu instid0(VALU_DEP_1) | instskip(SKIP_1) | instid1(VALU_DEP_1)
	v_ldexp_f64 v[55:56], v[57:58], v11
	s_wait_alu 0xfffd
	v_cndmask_b32_e32 v11, 0x7ff00000, v56, vcc_lo
	s_and_b32 vcc_lo, s4, vcc_lo
	s_wait_alu 0xfffe
	s_delay_alu instid0(VALU_DEP_2) | instskip(SKIP_4) | instid1(VALU_DEP_3)
	v_cndmask_b32_e32 v53, 0, v55, vcc_lo
	v_mul_f64_e32 v[55:56], -2.0, v[7:8]
	v_cndmask_b32_e64 v54, 0, v11, s4
	v_mul_f64_e32 v[7:8], v[49:50], v[7:8]
	s_mov_b32 s4, 0
	v_mul_f64_e32 v[55:56], s[24:25], v[55:56]
	s_delay_alu instid0(VALU_DEP_2) | instskip(NEXT) | instid1(VALU_DEP_2)
	v_div_scale_f64 v[49:50], null, v[9:10], v[9:10], v[7:8]
	v_mul_f64_e32 v[53:54], v[53:54], v[55:56]
	v_mul_f64_e32 v[55:56], s[6:7], v[47:48]
	s_delay_alu instid0(VALU_DEP_1) | instskip(NEXT) | instid1(VALU_DEP_1)
	v_div_scale_f64 v[57:58], null, v[55:56], v[55:56], v[53:54]
	v_rcp_f64_e32 v[59:60], v[57:58]
	s_delay_alu instid0(TRANS32_DEP_1) | instskip(NEXT) | instid1(VALU_DEP_1)
	v_fma_f64 v[61:62], -v[57:58], v[59:60], 1.0
	v_fma_f64 v[59:60], v[59:60], v[61:62], v[59:60]
	s_delay_alu instid0(VALU_DEP_1) | instskip(NEXT) | instid1(VALU_DEP_1)
	v_fma_f64 v[61:62], -v[57:58], v[59:60], 1.0
	v_fma_f64 v[59:60], v[59:60], v[61:62], v[59:60]
	v_div_scale_f64 v[61:62], vcc_lo, v[53:54], v[55:56], v[53:54]
	s_delay_alu instid0(VALU_DEP_1) | instskip(NEXT) | instid1(VALU_DEP_1)
	v_mul_f64_e32 v[63:64], v[61:62], v[59:60]
	v_fma_f64 v[57:58], -v[57:58], v[63:64], v[61:62]
	s_wait_alu 0xfffd
	s_delay_alu instid0(VALU_DEP_1) | instskip(SKIP_1) | instid1(VALU_DEP_1)
	v_div_fmas_f64 v[57:58], v[57:58], v[59:60], v[63:64]
	v_rcp_f64_e32 v[59:60], v[49:50]
	v_div_fixup_f64 v[53:54], v[57:58], v[55:56], v[53:54]
	s_delay_alu instid0(TRANS32_DEP_1) | instskip(NEXT) | instid1(VALU_DEP_1)
	v_fma_f64 v[61:62], -v[49:50], v[59:60], 1.0
	v_fma_f64 v[59:60], v[59:60], v[61:62], v[59:60]
	s_delay_alu instid0(VALU_DEP_1) | instskip(NEXT) | instid1(VALU_DEP_1)
	v_fma_f64 v[61:62], -v[49:50], v[59:60], 1.0
	v_fma_f64 v[59:60], v[59:60], v[61:62], v[59:60]
	v_div_scale_f64 v[61:62], vcc_lo, v[7:8], v[9:10], v[7:8]
	s_delay_alu instid0(VALU_DEP_1) | instskip(NEXT) | instid1(VALU_DEP_1)
	v_mul_f64_e32 v[63:64], v[61:62], v[59:60]
	v_fma_f64 v[49:50], -v[49:50], v[63:64], v[61:62]
	s_wait_alu 0xfffd
	s_delay_alu instid0(VALU_DEP_1) | instskip(NEXT) | instid1(VALU_DEP_1)
	v_div_fmas_f64 v[49:50], v[49:50], v[59:60], v[63:64]
	v_div_fixup_f64 v[7:8], v[49:50], v[9:10], v[7:8]
	global_load_b64 v[9:10], v[39:40], off offset:48
	v_add_f64_e64 v[49:50], v[53:54], -v[7:8]
	v_div_fixup_f64 v[7:8], v[51:52], v[47:48], v[41:42]
	s_delay_alu instid0(VALU_DEP_1)
	v_mul_f64_e64 v[51:52], v[7:8], -v[49:50]
.LBB0_53:                               ;   Parent Loop BB0_40 Depth=1
                                        ; =>  This Inner Loop Header: Depth=2
	s_wait_loadcnt 0x0
	s_delay_alu instid0(VALU_DEP_1)
	v_add_f64_e64 v[7:8], v[9:10], -v[51:52]
	global_atomic_cmpswap_b64 v[7:8], v[39:40], v[7:10], off offset:48 th:TH_ATOMIC_RETURN scope:SCOPE_DEV
	s_wait_loadcnt 0x0
	v_cmp_eq_u64_e32 vcc_lo, v[7:8], v[9:10]
	v_dual_mov_b32 v10, v8 :: v_dual_mov_b32 v9, v7
	s_wait_alu 0xfffe
	s_or_b32 s4, vcc_lo, s4
	s_wait_alu 0xfffe
	s_and_not1_b32 exec_lo, exec_lo, s4
	s_cbranch_execnz .LBB0_53
; %bb.54:                               ;   in Loop: Header=BB0_40 Depth=1
	s_or_b32 exec_lo, exec_lo, s4
	v_div_scale_f64 v[7:8], null, v[47:48], v[47:48], v[43:44]
	global_load_b64 v[9:10], v[39:40], off offset:56
	s_mov_b32 s4, 0
	v_rcp_f64_e32 v[53:54], v[7:8]
	s_delay_alu instid0(TRANS32_DEP_1) | instskip(NEXT) | instid1(VALU_DEP_1)
	v_fma_f64 v[55:56], -v[7:8], v[53:54], 1.0
	v_fma_f64 v[53:54], v[53:54], v[55:56], v[53:54]
	s_delay_alu instid0(VALU_DEP_1) | instskip(NEXT) | instid1(VALU_DEP_1)
	v_fma_f64 v[55:56], -v[7:8], v[53:54], 1.0
	v_fma_f64 v[53:54], v[53:54], v[55:56], v[53:54]
	v_div_scale_f64 v[55:56], vcc_lo, v[43:44], v[47:48], v[43:44]
	s_delay_alu instid0(VALU_DEP_1) | instskip(NEXT) | instid1(VALU_DEP_1)
	v_mul_f64_e32 v[57:58], v[55:56], v[53:54]
	v_fma_f64 v[7:8], -v[7:8], v[57:58], v[55:56]
	s_wait_alu 0xfffd
	s_delay_alu instid0(VALU_DEP_1) | instskip(NEXT) | instid1(VALU_DEP_1)
	v_div_fmas_f64 v[7:8], v[7:8], v[53:54], v[57:58]
	v_div_fixup_f64 v[7:8], v[7:8], v[47:48], v[43:44]
	s_delay_alu instid0(VALU_DEP_1)
	v_mul_f64_e64 v[53:54], v[7:8], -v[49:50]
.LBB0_55:                               ;   Parent Loop BB0_40 Depth=1
                                        ; =>  This Inner Loop Header: Depth=2
	s_wait_loadcnt 0x0
	s_delay_alu instid0(VALU_DEP_1)
	v_add_f64_e64 v[7:8], v[9:10], -v[53:54]
	global_atomic_cmpswap_b64 v[7:8], v[39:40], v[7:10], off offset:56 th:TH_ATOMIC_RETURN scope:SCOPE_DEV
	s_wait_loadcnt 0x0
	v_cmp_eq_u64_e32 vcc_lo, v[7:8], v[9:10]
	v_dual_mov_b32 v10, v8 :: v_dual_mov_b32 v9, v7
	s_wait_alu 0xfffe
	s_or_b32 s4, vcc_lo, s4
	s_wait_alu 0xfffe
	s_and_not1_b32 exec_lo, exec_lo, s4
	s_cbranch_execnz .LBB0_55
; %bb.56:                               ;   in Loop: Header=BB0_40 Depth=1
	s_or_b32 exec_lo, exec_lo, s4
	v_div_scale_f64 v[7:8], null, v[47:48], v[47:48], v[45:46]
	v_add_f64_e32 v[0:1], v[0:1], v[51:52]
	v_add_f64_e32 v[2:3], v[2:3], v[53:54]
	s_mov_b32 s4, 0
	s_delay_alu instid0(VALU_DEP_3) | instskip(NEXT) | instid1(TRANS32_DEP_1)
	v_rcp_f64_e32 v[9:10], v[7:8]
	v_fma_f64 v[55:56], -v[7:8], v[9:10], 1.0
	s_delay_alu instid0(VALU_DEP_1) | instskip(NEXT) | instid1(VALU_DEP_1)
	v_fma_f64 v[9:10], v[9:10], v[55:56], v[9:10]
	v_fma_f64 v[55:56], -v[7:8], v[9:10], 1.0
	s_delay_alu instid0(VALU_DEP_1) | instskip(SKIP_1) | instid1(VALU_DEP_1)
	v_fma_f64 v[9:10], v[9:10], v[55:56], v[9:10]
	v_div_scale_f64 v[55:56], vcc_lo, v[45:46], v[47:48], v[45:46]
	v_mul_f64_e32 v[57:58], v[55:56], v[9:10]
	s_delay_alu instid0(VALU_DEP_1) | instskip(SKIP_1) | instid1(VALU_DEP_1)
	v_fma_f64 v[7:8], -v[7:8], v[57:58], v[55:56]
	s_wait_alu 0xfffd
	v_div_fmas_f64 v[7:8], v[7:8], v[9:10], v[57:58]
	global_load_b64 v[9:10], v[39:40], off offset:64
	v_div_fixup_f64 v[7:8], v[7:8], v[47:48], v[45:46]
	s_delay_alu instid0(VALU_DEP_1)
	v_fma_f64 v[4:5], v[7:8], -v[49:50], v[4:5]
	v_mul_f64_e64 v[47:48], v[7:8], -v[49:50]
.LBB0_57:                               ;   Parent Loop BB0_40 Depth=1
                                        ; =>  This Inner Loop Header: Depth=2
	s_wait_loadcnt 0x0
	s_delay_alu instid0(VALU_DEP_1)
	v_add_f64_e64 v[7:8], v[9:10], -v[47:48]
	global_atomic_cmpswap_b64 v[7:8], v[39:40], v[7:10], off offset:64 th:TH_ATOMIC_RETURN scope:SCOPE_DEV
	s_wait_loadcnt 0x0
	v_cmp_eq_u64_e32 vcc_lo, v[7:8], v[9:10]
	v_dual_mov_b32 v10, v8 :: v_dual_mov_b32 v9, v7
	s_wait_alu 0xfffe
	s_or_b32 s4, vcc_lo, s4
	s_wait_alu 0xfffe
	s_and_not1_b32 exec_lo, exec_lo, s4
	s_cbranch_execnz .LBB0_57
; %bb.58:                               ;   in Loop: Header=BB0_40 Depth=1
	s_or_b32 exec_lo, exec_lo, s4
.LBB0_59:                               ;   in Loop: Header=BB0_40 Depth=1
	s_wait_alu 0xfffe
	s_or_b32 exec_lo, exec_lo, s5
.LBB0_60:                               ;   in Loop: Header=BB0_40 Depth=1
	s_wait_alu 0xfffe
	s_or_b32 exec_lo, exec_lo, s0
	s_delay_alu instid0(SALU_CYCLE_1)
	s_and_not1_b32 vcc_lo, exec_lo, s42
	s_wait_alu 0xfffe
	s_cbranch_vccnz .LBB0_38
; %bb.61:                               ;   in Loop: Header=BB0_40 Depth=1
	global_load_b32 v7, v[39:40], off offset:72
	s_mov_b32 vcc_hi, exec_lo
	s_wait_loadcnt 0x0
	v_cmpx_lt_i32_e64 v34, v7
	s_cbranch_execz .LBB0_37
; %bb.62:                               ;   in Loop: Header=BB0_40 Depth=1
	global_load_b64 v[7:8], v[39:40], off offset:40
	v_readlane_b32 s4, v81, 6
	v_readlane_b32 s5, v81, 7
	s_mov_b32 s4, s80
	s_mov_b32 s52, 0
	;; [unrolled: 1-line block ×3, first 2 shown]
	v_writelane_b32 v81, s6, 6
	s_wait_alu 0xfffe
	v_writelane_b32 v81, s7, 7
	s_wait_loadcnt 0x0
	v_mul_f64_e32 v[7:8], v[22:23], v[7:8]
	s_delay_alu instid0(VALU_DEP_1) | instskip(NEXT) | instid1(VALU_DEP_1)
	v_mul_f64_e32 v[7:8], v[37:38], v[7:8]
	v_mul_f64_e32 v[47:48], s[4:5], v[7:8]
	s_branch .LBB0_64
.LBB0_63:                               ;   in Loop: Header=BB0_64 Depth=2
	s_add_co_i32 s52, s52, 1
	s_delay_alu instid0(SALU_CYCLE_1)
	s_cmp_lg_u32 s52, 3
	s_cbranch_scc0 .LBB0_37
.LBB0_64:                               ;   Parent Loop BB0_40 Depth=1
                                        ; =>  This Loop Header: Depth=2
                                        ;       Child Loop BB0_67 Depth 3
                                        ;         Child Loop BB0_69 Depth 4
                                        ;           Child Loop BB0_75 Depth 5
                                        ;       Child Loop BB0_81 Depth 3
	s_and_not1_b32 vcc_lo, exec_lo, s43
	s_wait_alu 0xfffe
	s_cbranch_vccnz .LBB0_63
; %bb.65:                               ;   in Loop: Header=BB0_64 Depth=2
	s_lshl_b64 s[4:5], s[52:53], 3
	s_mov_b32 s48, 0
	s_wait_alu 0xfffe
	v_add_co_u32 v49, vcc_lo, v39, s4
	s_wait_alu 0xfffd
	v_add_co_ci_u32_e64 v50, null, s5, v40, vcc_lo
	s_cmp_lg_u32 s48, 0
	s_cselect_b32 s49, s45, 0
	s_wait_alu 0xfffe
	s_cmp_gt_i32 s49, s26
	s_cbranch_scc1 .LBB0_81
.LBB0_66:                               ;   in Loop: Header=BB0_64 Depth=2
	v_cvt_f64_i32_e32 v[51:52], s48
.LBB0_67:                               ;   Parent Loop BB0_40 Depth=1
                                        ;     Parent Loop BB0_64 Depth=2
                                        ; =>    This Loop Header: Depth=3
                                        ;         Child Loop BB0_69 Depth 4
                                        ;           Child Loop BB0_75 Depth 5
	s_wait_alu 0xfffe
	s_or_b32 s0, s49, s48
	s_wait_alu 0xfffe
	s_cmp_lg_u32 s0, 0
	s_cselect_b32 s50, s45, 1
	s_wait_alu 0xfffe
	s_cmp_gt_i32 s50, s26
	s_cbranch_scc1 .LBB0_79
; %bb.68:                               ;   in Loop: Header=BB0_67 Depth=3
	v_cvt_f64_i32_e32 v[53:54], s49
	s_mul_i32 s51, s49, s49
	s_mul_i32 s0, s48, s48
	s_wait_alu 0xfffe
	s_add_co_i32 s51, s51, s0
.LBB0_69:                               ;   Parent Loop BB0_40 Depth=1
                                        ;     Parent Loop BB0_64 Depth=2
                                        ;       Parent Loop BB0_67 Depth=3
                                        ; =>      This Loop Header: Depth=4
                                        ;           Child Loop BB0_75 Depth 5
	s_wait_alu 0xfffe
	s_mul_i32 s0, s50, s50
	s_mul_i32 s4, s26, s26
	s_wait_alu 0xfffe
	s_add_co_i32 s0, s51, s0
	s_wait_alu 0xfffe
	s_cmp_gt_u32 s0, s4
	s_cbranch_scc1 .LBB0_77
; %bb.70:                               ;   in Loop: Header=BB0_69 Depth=4
	s_load_b512 s[4:19], s[28:29], 0x0
	v_cvt_f64_i32_e32 v[61:62], s50
	s_wait_kmcnt 0x0
	v_mul_f64_e64 v[7:8], s[6:7], s[80:81]
	v_mul_f64_e64 v[55:56], s[4:5], s[80:81]
	v_mul_f64_e64 v[9:10], s[12:13], s[80:81]
	v_mul_f64_e64 v[59:60], s[10:11], s[80:81]
	v_mul_f64_e64 v[57:58], s[8:9], s[80:81]
	s_load_b64 s[4:5], s[28:29], 0x40
	v_fma_f64 v[7:8], v[7:8], v[51:52], 0
	v_fma_f64 v[55:56], v[55:56], v[51:52], 0
	s_delay_alu instid0(VALU_DEP_3) | instskip(NEXT) | instid1(VALU_DEP_3)
	v_fma_f64 v[57:58], v[57:58], v[51:52], 0
	v_fma_f64 v[7:8], v[9:10], v[53:54], v[7:8]
	s_delay_alu instid0(VALU_DEP_3) | instskip(SKIP_2) | instid1(VALU_DEP_2)
	v_fma_f64 v[59:60], v[59:60], v[53:54], v[55:56]
	v_mul_f64_e64 v[55:56], s[18:19], s[80:81]
	v_mul_f64_e64 v[9:10], s[14:15], s[80:81]
	v_fma_f64 v[55:56], v[55:56], v[61:62], v[7:8]
	v_mul_f64_e64 v[7:8], s[16:17], s[80:81]
	s_delay_alu instid0(VALU_DEP_3) | instskip(NEXT) | instid1(VALU_DEP_2)
	v_fma_f64 v[9:10], v[9:10], v[53:54], v[57:58]
	v_fma_f64 v[57:58], v[7:8], v[61:62], v[59:60]
	s_wait_kmcnt 0x0
	v_mul_f64_e64 v[7:8], s[4:5], s[80:81]
                                        ; implicit-def: $vgpr59_vgpr60
	s_delay_alu instid0(VALU_DEP_1) | instskip(SKIP_1) | instid1(VALU_DEP_1)
	v_fma_f64 v[10:11], v[7:8], v[61:62], v[9:10]
	v_mul_f64_e32 v[7:8], v[43:44], v[55:56]
                                        ; implicit-def: $vgpr61_vgpr62
	v_fma_f64 v[7:8], v[41:42], v[57:58], v[7:8]
	s_delay_alu instid0(VALU_DEP_1) | instskip(NEXT) | instid1(VALU_DEP_1)
	v_fma_f64 v[8:9], v[45:46], v[10:11], v[7:8]
                                        ; implicit-def: $vgpr7
	v_cmp_ngt_f64_e64 s0, 0x41d00000, |v[8:9]|
	s_and_saveexec_b32 s4, s0
	s_wait_alu 0xfffe
	s_xor_b32 s0, exec_lo, s4
	s_cbranch_execz .LBB0_72
; %bb.71:                               ;   in Loop: Header=BB0_69 Depth=4
	v_ldexp_f64 v[59:60], |v[8:9]|, 0xffffff80
	v_cmp_le_f64_e64 vcc_lo, 0x7b000000, |v[8:9]|
	v_trig_preop_f64 v[61:62], |v[8:9]|, 0
	v_and_b32_e32 v7, 0x7fffffff, v9
	v_trig_preop_f64 v[63:64], |v[8:9]|, 1
	v_trig_preop_f64 v[69:70], |v[8:9]|, 2
	s_mov_b32 s20, s80
	s_mov_b32 s35, s23
	s_wait_alu 0xfffd
	v_dual_cndmask_b32 v60, v7, v60 :: v_dual_cndmask_b32 v59, v8, v59
	s_delay_alu instid0(VALU_DEP_1) | instskip(NEXT) | instid1(VALU_DEP_4)
	v_mul_f64_e32 v[65:66], v[61:62], v[59:60]
	v_mul_f64_e32 v[67:68], v[63:64], v[59:60]
	s_delay_alu instid0(VALU_DEP_4) | instskip(NEXT) | instid1(VALU_DEP_3)
	v_mul_f64_e32 v[71:72], v[69:70], v[59:60]
	v_fma_f64 v[61:62], v[61:62], v[59:60], -v[65:66]
	s_delay_alu instid0(VALU_DEP_3) | instskip(NEXT) | instid1(VALU_DEP_3)
	v_fma_f64 v[63:64], v[63:64], v[59:60], -v[67:68]
	v_fma_f64 v[59:60], v[69:70], v[59:60], -v[71:72]
	s_delay_alu instid0(VALU_DEP_3) | instskip(NEXT) | instid1(VALU_DEP_1)
	v_add_f64_e32 v[69:70], v[67:68], v[61:62]
	v_add_f64_e64 v[73:74], v[69:70], -v[67:68]
	s_delay_alu instid0(VALU_DEP_1) | instskip(SKIP_1) | instid1(VALU_DEP_1)
	v_add_f64_e64 v[61:62], v[61:62], -v[73:74]
	v_add_f64_e64 v[73:74], v[69:70], -v[73:74]
	;; [unrolled: 1-line block ×3, first 2 shown]
	v_add_f64_e32 v[73:74], v[71:72], v[63:64]
	s_delay_alu instid0(VALU_DEP_2) | instskip(NEXT) | instid1(VALU_DEP_2)
	v_add_f64_e32 v[61:62], v[61:62], v[67:68]
	v_add_f64_e64 v[75:76], v[73:74], -v[71:72]
	s_delay_alu instid0(VALU_DEP_2) | instskip(NEXT) | instid1(VALU_DEP_2)
	v_add_f64_e32 v[67:68], v[73:74], v[61:62]
	v_add_f64_e64 v[63:64], v[63:64], -v[75:76]
	v_add_f64_e64 v[75:76], v[73:74], -v[75:76]
	s_delay_alu instid0(VALU_DEP_1) | instskip(NEXT) | instid1(VALU_DEP_1)
	v_add_f64_e64 v[71:72], v[71:72], -v[75:76]
	v_add_f64_e32 v[63:64], v[63:64], v[71:72]
	v_add_f64_e64 v[71:72], v[67:68], -v[73:74]
	s_delay_alu instid0(VALU_DEP_1) | instskip(SKIP_1) | instid1(VALU_DEP_1)
	v_add_f64_e64 v[61:62], v[61:62], -v[71:72]
	v_add_f64_e64 v[71:72], v[67:68], -v[71:72]
	;; [unrolled: 1-line block ×3, first 2 shown]
	v_add_f64_e32 v[73:74], v[65:66], v[69:70]
	s_delay_alu instid0(VALU_DEP_2) | instskip(NEXT) | instid1(VALU_DEP_2)
	v_add_f64_e32 v[61:62], v[61:62], v[71:72]
	v_add_f64_e64 v[65:66], v[73:74], -v[65:66]
	v_ldexp_f64 v[73:74], v[73:74], -2
	s_delay_alu instid0(VALU_DEP_3) | instskip(NEXT) | instid1(VALU_DEP_3)
	v_add_f64_e32 v[61:62], v[63:64], v[61:62]
	v_add_f64_e64 v[65:66], v[69:70], -v[65:66]
	s_delay_alu instid0(VALU_DEP_3) | instskip(SKIP_1) | instid1(VALU_DEP_4)
	v_fract_f64_e32 v[75:76], v[73:74]
	v_cmp_neq_f64_e64 vcc_lo, 0x7ff00000, |v[73:74]|
	v_add_f64_e32 v[59:60], v[59:60], v[61:62]
	s_delay_alu instid0(VALU_DEP_4) | instskip(NEXT) | instid1(VALU_DEP_4)
	v_add_f64_e32 v[63:64], v[65:66], v[67:68]
	v_ldexp_f64 v[75:76], v[75:76], 2
	s_delay_alu instid0(VALU_DEP_2) | instskip(SKIP_1) | instid1(VALU_DEP_2)
	v_add_f64_e64 v[65:66], v[63:64], -v[65:66]
	s_wait_alu 0xfffd
	v_dual_cndmask_b32 v70, 0, v76 :: v_dual_cndmask_b32 v69, 0, v75
	s_delay_alu instid0(VALU_DEP_1) | instskip(NEXT) | instid1(VALU_DEP_3)
	v_add_f64_e32 v[71:72], v[63:64], v[69:70]
	v_add_f64_e64 v[65:66], v[67:68], -v[65:66]
	s_delay_alu instid0(VALU_DEP_2) | instskip(NEXT) | instid1(VALU_DEP_2)
	v_cmp_gt_f64_e32 vcc_lo, 0, v[71:72]
	v_add_f64_e32 v[59:60], v[65:66], v[59:60]
	s_wait_alu 0xfffd
	v_cndmask_b32_e64 v7, 0, 0x40100000, vcc_lo
	s_delay_alu instid0(VALU_DEP_1) | instskip(NEXT) | instid1(VALU_DEP_1)
	v_add_f64_e32 v[69:70], v[69:70], v[6:7]
	v_add_f64_e32 v[71:72], v[63:64], v[69:70]
	s_delay_alu instid0(VALU_DEP_1) | instskip(NEXT) | instid1(VALU_DEP_1)
	v_cvt_i32_f64_e32 v35, v[71:72]
	v_cvt_f64_i32_e32 v[71:72], v35
	s_delay_alu instid0(VALU_DEP_1) | instskip(NEXT) | instid1(VALU_DEP_1)
	v_add_f64_e64 v[69:70], v[69:70], -v[71:72]
	v_add_f64_e32 v[61:62], v[63:64], v[69:70]
	s_delay_alu instid0(VALU_DEP_1) | instskip(SKIP_1) | instid1(VALU_DEP_2)
	v_add_f64_e64 v[67:68], v[61:62], -v[69:70]
	v_cmp_le_f64_e32 vcc_lo, 0.5, v[61:62]
	v_add_f64_e64 v[63:64], v[63:64], -v[67:68]
	s_wait_alu 0xfffd
	v_cndmask_b32_e64 v7, 0, 0x3ff00000, vcc_lo
	s_delay_alu instid0(VALU_DEP_1) | instskip(SKIP_1) | instid1(VALU_DEP_4)
	v_add_f64_e64 v[61:62], v[61:62], -v[6:7]
	v_add_co_ci_u32_e64 v7, null, 0, v35, vcc_lo
	v_add_f64_e32 v[59:60], v[59:60], v[63:64]
	s_delay_alu instid0(VALU_DEP_1) | instskip(SKIP_1) | instid1(VALU_DEP_1)
	v_add_f64_e32 v[63:64], v[61:62], v[59:60]
	s_wait_alu 0xfffe
	v_mul_f64_e32 v[65:66], s[20:21], v[63:64]
	v_add_f64_e64 v[61:62], v[63:64], -v[61:62]
	s_delay_alu instid0(VALU_DEP_2) | instskip(NEXT) | instid1(VALU_DEP_2)
	v_fma_f64 v[67:68], v[63:64], s[20:21], -v[65:66]
	v_add_f64_e64 v[59:60], v[59:60], -v[61:62]
	s_delay_alu instid0(VALU_DEP_2) | instskip(NEXT) | instid1(VALU_DEP_1)
	v_fma_f64 v[61:62], v[63:64], s[34:35], v[67:68]
	v_fma_f64 v[61:62], v[59:60], s[20:21], v[61:62]
	s_delay_alu instid0(VALU_DEP_1) | instskip(NEXT) | instid1(VALU_DEP_1)
	v_add_f64_e32 v[59:60], v[65:66], v[61:62]
	v_add_f64_e64 v[63:64], v[59:60], -v[65:66]
	s_delay_alu instid0(VALU_DEP_1)
	v_add_f64_e64 v[61:62], v[61:62], -v[63:64]
.LBB0_72:                               ;   in Loop: Header=BB0_69 Depth=4
	s_wait_alu 0xfffe
	s_and_not1_saveexec_b32 s4, s0
	s_cbranch_execz .LBB0_74
; %bb.73:                               ;   in Loop: Header=BB0_69 Depth=4
	v_mul_f64_e64 v[59:60], |v[8:9]|, s[82:83]
	s_mov_b32 s0, s80
	s_mov_b32 s22, s84
	s_delay_alu instid0(VALU_DEP_1) | instskip(SKIP_1) | instid1(VALU_DEP_1)
	v_rndne_f64_e32 v[63:64], v[59:60]
	s_wait_alu 0xfffe
	v_fma_f64 v[59:60], v[63:64], s[0:1], |v[8:9]|
	v_mul_f64_e32 v[61:62], s[84:85], v[63:64]
	v_cvt_i32_f64_e32 v7, v[63:64]
	s_delay_alu instid0(VALU_DEP_3) | instskip(NEXT) | instid1(VALU_DEP_3)
	v_fma_f64 v[67:68], v[63:64], s[84:85], v[59:60]
	v_add_f64_e32 v[65:66], v[59:60], v[61:62]
	s_delay_alu instid0(VALU_DEP_1) | instskip(NEXT) | instid1(VALU_DEP_3)
	v_add_f64_e64 v[59:60], v[59:60], -v[65:66]
	v_add_f64_e64 v[65:66], v[65:66], -v[67:68]
	s_delay_alu instid0(VALU_DEP_2) | instskip(SKIP_1) | instid1(VALU_DEP_2)
	v_add_f64_e32 v[59:60], v[59:60], v[61:62]
	v_fma_f64 v[61:62], v[63:64], s[22:23], v[61:62]
	v_add_f64_e32 v[59:60], v[65:66], v[59:60]
	s_delay_alu instid0(VALU_DEP_1) | instskip(NEXT) | instid1(VALU_DEP_1)
	v_add_f64_e64 v[59:60], v[59:60], -v[61:62]
	v_fma_f64 v[61:62], v[63:64], s[86:87], v[59:60]
	s_delay_alu instid0(VALU_DEP_1) | instskip(NEXT) | instid1(VALU_DEP_1)
	v_add_f64_e32 v[59:60], v[67:68], v[61:62]
	v_add_f64_e64 v[65:66], v[59:60], -v[67:68]
	s_delay_alu instid0(VALU_DEP_1)
	v_add_f64_e64 v[61:62], v[61:62], -v[65:66]
.LBB0_74:                               ;   in Loop: Header=BB0_69 Depth=4
	s_wait_alu 0xfffe
	s_or_b32 exec_lo, exec_lo, s4
	v_mul_f64_e32 v[63:64], v[59:60], v[59:60]
	s_mov_b32 s39, s73
	s_delay_alu instid0(VALU_DEP_2)
	v_mul_f64_e32 v[71:72], 0.5, v[61:62]
	s_mov_b32 s75, s37
	s_cmp_eq_u32 s52, 1
	s_mov_b32 s0, 0
	s_cselect_b32 s4, -1, 0
	s_cmp_eq_u32 s52, 2
	s_wait_alu 0xfffe
	v_cndmask_b32_e64 v35, v57, v55, s4
	s_cselect_b32 s5, -1, 0
	s_delay_alu instid0(VALU_DEP_3) | instskip(SKIP_1) | instid1(VALU_DEP_2)
	v_mul_f64_e32 v[65:66], 0.5, v[63:64]
	v_mul_f64_e64 v[73:74], v[59:60], -v[63:64]
	v_add_f64_e64 v[67:68], -v[65:66], 1.0
	s_delay_alu instid0(VALU_DEP_1) | instskip(NEXT) | instid1(VALU_DEP_1)
	v_add_f64_e64 v[69:70], -v[67:68], 1.0
	v_add_f64_e64 v[65:66], v[69:70], -v[65:66]
	v_fma_f64 v[69:70], v[63:64], s[100:101], s[98:99]
	s_delay_alu instid0(VALU_DEP_2) | instskip(NEXT) | instid1(VALU_DEP_2)
	v_fma_f64 v[65:66], v[59:60], -v[61:62], v[65:66]
	v_fma_f64 v[69:70], v[63:64], v[69:70], s[102:103]
	s_delay_alu instid0(VALU_DEP_1) | instskip(NEXT) | instid1(VALU_DEP_1)
	v_fma_f64 v[69:70], v[63:64], v[69:70], s[2:3]
	v_fma_f64 v[69:70], v[63:64], v[69:70], s[38:39]
	s_delay_alu instid0(VALU_DEP_1) | instskip(NEXT) | instid1(VALU_DEP_1)
	v_fma_f64 v[69:70], v[73:74], v[69:70], v[71:72]
	v_fma_f64 v[61:62], v[63:64], v[69:70], -v[61:62]
	v_fma_f64 v[69:70], v[63:64], s[90:91], s[88:89]
	s_delay_alu instid0(VALU_DEP_1) | instskip(NEXT) | instid1(VALU_DEP_1)
	v_fma_f64 v[69:70], v[63:64], v[69:70], s[92:93]
	v_fma_f64 v[69:70], v[63:64], v[69:70], s[94:95]
	s_delay_alu instid0(VALU_DEP_1) | instskip(NEXT) | instid1(VALU_DEP_1)
	v_fma_f64 v[69:70], v[63:64], v[69:70], s[96:97]
	v_fma_f64 v[69:70], v[63:64], v[69:70], s[74:75]
	v_mul_f64_e32 v[63:64], v[63:64], v[63:64]
	s_mov_b32 s75, 0xbfc55555
	s_delay_alu instid0(VALU_DEP_1) | instskip(SKIP_2) | instid1(VALU_DEP_2)
	v_fma_f64 v[63:64], v[63:64], v[69:70], v[65:66]
	v_mul_f64_e32 v[65:66], v[55:56], v[55:56]
	v_cndmask_b32_e64 v55, v58, v56, s4
	v_fma_f64 v[65:66], v[57:58], v[57:58], v[65:66]
	s_delay_alu instid0(VALU_DEP_4) | instskip(NEXT) | instid1(VALU_DEP_2)
	v_add_f64_e32 v[57:58], v[67:68], v[63:64]
	v_fma_f64 v[65:66], v[10:11], v[10:11], v[65:66]
	s_wait_alu 0xfffe
	v_cndmask_b32_e64 v11, v55, v11, s5
	v_fma_f64 v[55:56], v[73:74], s[74:75], v[61:62]
	v_cndmask_b32_e64 v10, v35, v10, s5
	v_and_b32_e32 v35, 1, v7
	s_delay_alu instid0(VALU_DEP_2) | instskip(SKIP_2) | instid1(VALU_DEP_2)
	v_mul_f64_e32 v[10:11], v[47:48], v[10:11]
	v_div_scale_f64 v[69:70], null, v[20:21], v[20:21], -v[65:66]
	v_add_f64_e64 v[55:56], v[59:60], -v[55:56]
	v_rcp_f64_e32 v[71:72], v[69:70]
	s_delay_alu instid0(TRANS32_DEP_1) | instskip(NEXT) | instid1(VALU_DEP_1)
	v_fma_f64 v[75:76], -v[69:70], v[71:72], 1.0
	v_fma_f64 v[71:72], v[71:72], v[75:76], v[71:72]
	s_delay_alu instid0(VALU_DEP_1) | instskip(NEXT) | instid1(VALU_DEP_1)
	v_fma_f64 v[75:76], -v[69:70], v[71:72], 1.0
	v_fma_f64 v[71:72], v[71:72], v[75:76], v[71:72]
	v_div_scale_f64 v[75:76], vcc_lo, -v[65:66], v[20:21], -v[65:66]
	s_delay_alu instid0(VALU_DEP_1) | instskip(NEXT) | instid1(VALU_DEP_1)
	v_mul_f64_e32 v[77:78], v[75:76], v[71:72]
	v_fma_f64 v[69:70], -v[69:70], v[77:78], v[75:76]
	s_wait_alu 0xfffd
	s_delay_alu instid0(VALU_DEP_1) | instskip(SKIP_4) | instid1(VALU_DEP_4)
	v_div_fmas_f64 v[69:70], v[69:70], v[71:72], v[77:78]
	v_cmp_eq_u32_e32 vcc_lo, 0, v35
	s_wait_alu 0xfffd
	v_cndmask_b32_e32 v35, v57, v55, vcc_lo
	v_cndmask_b32_e32 v63, v58, v56, vcc_lo
	v_div_fixup_f64 v[55:56], v[69:70], v[20:21], -v[65:66]
	s_delay_alu instid0(VALU_DEP_1) | instskip(SKIP_2) | instid1(VALU_DEP_3)
	v_mul_f64_e32 v[57:58], s[54:55], v[55:56]
	v_cmp_nlt_f64_e32 vcc_lo, 0x40900000, v[55:56]
	v_cmp_ngt_f64_e64 s6, 0xc090cc00, v[55:56]
	v_rndne_f64_e32 v[57:58], v[57:58]
	s_delay_alu instid0(VALU_DEP_1) | instskip(NEXT) | instid1(VALU_DEP_1)
	v_fma_f64 v[59:60], v[57:58], s[56:57], v[55:56]
	v_fma_f64 v[59:60], v[57:58], s[58:59], v[59:60]
	v_cvt_i32_f64_e32 v57, v[57:58]
	s_delay_alu instid0(VALU_DEP_2) | instskip(NEXT) | instid1(VALU_DEP_1)
	v_fma_f64 v[61:62], v[59:60], s[62:63], s[60:61]
	v_fma_f64 v[61:62], v[59:60], v[61:62], s[64:65]
	s_delay_alu instid0(VALU_DEP_1) | instskip(NEXT) | instid1(VALU_DEP_1)
	v_fma_f64 v[61:62], v[59:60], v[61:62], s[66:67]
	v_fma_f64 v[61:62], v[59:60], v[61:62], s[68:69]
	s_delay_alu instid0(VALU_DEP_1) | instskip(NEXT) | instid1(VALU_DEP_1)
	;; [unrolled: 3-line block ×4, first 2 shown]
	v_fma_f64 v[61:62], v[59:60], v[61:62], s[78:79]
	v_fma_f64 v[61:62], v[59:60], v[61:62], 1.0
	s_delay_alu instid0(VALU_DEP_1) | instskip(NEXT) | instid1(VALU_DEP_1)
	v_fma_f64 v[59:60], v[59:60], v[61:62], 1.0
	v_ldexp_f64 v[57:58], v[59:60], v57
	s_wait_alu 0xfffd
	s_delay_alu instid0(VALU_DEP_1) | instskip(SKIP_3) | instid1(VALU_DEP_2)
	v_cndmask_b32_e32 v58, 0x7ff00000, v58, vcc_lo
	s_and_b32 vcc_lo, s6, vcc_lo
	s_cmp_eq_u32 s52, 0
	s_wait_alu 0xfffe
	v_cndmask_b32_e32 v55, 0, v57, vcc_lo
	v_cmp_class_f64_e64 vcc_lo, v[8:9], 0x1f8
	v_cndmask_b32_e64 v56, 0, v58, s6
	v_lshlrev_b32_e32 v7, 30, v7
	s_delay_alu instid0(VALU_DEP_2) | instskip(NEXT) | instid1(VALU_DEP_2)
	v_mul_f64_e32 v[10:11], v[10:11], v[55:56]
	v_xor_b32_e32 v7, v7, v9
	s_delay_alu instid0(VALU_DEP_1) | instskip(NEXT) | instid1(VALU_DEP_1)
	v_and_b32_e32 v7, 0x80000000, v7
	v_xor_b32_e32 v8, v63, v7
	s_wait_alu 0xfffd
	v_cndmask_b32_e32 v7, 0, v35, vcc_lo
	s_delay_alu instid0(VALU_DEP_2) | instskip(SKIP_1) | instid1(VALU_DEP_2)
	v_cndmask_b32_e32 v8, 0x7ff80000, v8, vcc_lo
	v_cndmask_b32_e64 v35, v0, v2, s4
	v_mul_f64_e32 v[7:8], v[10:11], v[7:8]
	v_cndmask_b32_e64 v11, v1, v3, s4
	s_delay_alu instid0(VALU_DEP_2) | instskip(NEXT) | instid1(VALU_DEP_1)
	v_div_scale_f64 v[9:10], null, v[65:66], v[65:66], v[7:8]
	v_rcp_f64_e32 v[55:56], v[9:10]
	s_delay_alu instid0(TRANS32_DEP_1) | instskip(NEXT) | instid1(VALU_DEP_1)
	v_fma_f64 v[57:58], -v[9:10], v[55:56], 1.0
	v_fma_f64 v[55:56], v[55:56], v[57:58], v[55:56]
	s_delay_alu instid0(VALU_DEP_1) | instskip(NEXT) | instid1(VALU_DEP_1)
	v_fma_f64 v[57:58], -v[9:10], v[55:56], 1.0
	v_fma_f64 v[55:56], v[55:56], v[57:58], v[55:56]
	v_div_scale_f64 v[57:58], vcc_lo, v[7:8], v[65:66], v[7:8]
	s_delay_alu instid0(VALU_DEP_1) | instskip(NEXT) | instid1(VALU_DEP_1)
	v_mul_f64_e32 v[59:60], v[57:58], v[55:56]
	v_fma_f64 v[9:10], -v[9:10], v[59:60], v[57:58]
	s_wait_alu 0xfffd
	s_delay_alu instid0(VALU_DEP_1) | instskip(SKIP_3) | instid1(VALU_DEP_3)
	v_div_fmas_f64 v[9:10], v[9:10], v[55:56], v[59:60]
	v_cndmask_b32_e64 v56, v11, v5, s5
	v_cndmask_b32_e64 v55, v35, v4, s5
	s_cselect_b32 vcc_lo, -1, 0
	v_div_fixup_f64 v[7:8], v[9:10], v[65:66], v[7:8]
	global_load_b64 v[9:10], v[49:50], off offset:48
	v_fma_f64 v[57:58], v[7:8], 2.0, v[55:56]
	v_add_f64_e32 v[55:56], v[7:8], v[7:8]
	s_delay_alu instid0(VALU_DEP_2) | instskip(NEXT) | instid1(VALU_DEP_3)
	v_cndmask_b32_e64 v5, v5, v58, s5
	v_cndmask_b32_e64 v4, v4, v57, s5
	;; [unrolled: 1-line block ×4, first 2 shown]
	s_wait_alu 0xfffe
	v_dual_cndmask_b32 v1, v1, v58 :: v_dual_cndmask_b32 v0, v0, v57
.LBB0_75:                               ;   Parent Loop BB0_40 Depth=1
                                        ;     Parent Loop BB0_64 Depth=2
                                        ;       Parent Loop BB0_67 Depth=3
                                        ;         Parent Loop BB0_69 Depth=4
                                        ; =>        This Inner Loop Header: Depth=5
	s_wait_loadcnt 0x0
	v_add_f64_e64 v[7:8], v[9:10], -v[55:56]
	global_atomic_cmpswap_b64 v[7:8], v[49:50], v[7:10], off offset:48 th:TH_ATOMIC_RETURN scope:SCOPE_DEV
	s_wait_loadcnt 0x0
	v_cmp_eq_u64_e32 vcc_lo, v[7:8], v[9:10]
	v_dual_mov_b32 v10, v8 :: v_dual_mov_b32 v9, v7
	s_or_b32 s0, vcc_lo, s0
	s_wait_alu 0xfffe
	s_and_not1_b32 exec_lo, exec_lo, s0
	s_cbranch_execnz .LBB0_75
; %bb.76:                               ;   in Loop: Header=BB0_69 Depth=4
	s_or_b32 exec_lo, exec_lo, s0
.LBB0_77:                               ;   in Loop: Header=BB0_69 Depth=4
	s_add_co_i32 s0, s50, 1
	s_cmp_lt_i32 s50, s26
	s_cbranch_scc0 .LBB0_79
; %bb.78:                               ;   in Loop: Header=BB0_69 Depth=4
	s_wait_alu 0xfffe
	s_mov_b32 s50, s0
	s_branch .LBB0_69
.LBB0_79:                               ;   in Loop: Header=BB0_67 Depth=3
	s_add_co_i32 s0, s49, 1
	s_cmp_lt_i32 s49, s26
	s_cbranch_scc0 .LBB0_81
; %bb.80:                               ;   in Loop: Header=BB0_67 Depth=3
	s_wait_alu 0xfffe
	s_mov_b32 s49, s0
	s_branch .LBB0_67
.LBB0_81:                               ;   Parent Loop BB0_40 Depth=1
                                        ;     Parent Loop BB0_64 Depth=2
                                        ; =>    This Inner Loop Header: Depth=3
	s_add_co_i32 s0, s48, 1
	s_cmp_lg_u32 s48, s26
	s_cbranch_scc0 .LBB0_63
; %bb.82:                               ;   in Loop: Header=BB0_81 Depth=3
	s_wait_alu 0xfffe
	s_mov_b32 s48, s0
	s_wait_alu 0xfffe
	s_cmp_lg_u32 s48, 0
	s_cselect_b32 s49, s45, 0
	s_wait_alu 0xfffe
	s_cmp_gt_i32 s49, s26
	s_cbranch_scc0 .LBB0_66
	s_branch .LBB0_81
.LBB0_83:
	v_mov_b32_e32 v0, 0
	s_delay_alu instid0(VALU_DEP_1)
	v_dual_mov_b32 v1, v0 :: v_dual_mov_b32 v2, v0
	v_dual_mov_b32 v3, v0 :: v_dual_mov_b32 v4, v0
	v_mov_b32_e32 v5, v0
.LBB0_84:
	global_load_b64 v[8:9], v[32:33], off offset:48
	s_mov_b32 s0, 0
.LBB0_85:                               ; =>This Inner Loop Header: Depth=1
	s_wait_loadcnt 0x0
	v_add_f64_e32 v[6:7], v[8:9], v[0:1]
	global_atomic_cmpswap_b64 v[6:7], v[32:33], v[6:9], off offset:48 th:TH_ATOMIC_RETURN scope:SCOPE_DEV
	s_wait_loadcnt 0x0
	v_cmp_eq_u64_e32 vcc_lo, v[6:7], v[8:9]
	v_dual_mov_b32 v9, v7 :: v_dual_mov_b32 v8, v6
	s_wait_alu 0xfffe
	s_or_b32 s0, vcc_lo, s0
	s_wait_alu 0xfffe
	s_and_not1_b32 exec_lo, exec_lo, s0
	s_cbranch_execnz .LBB0_85
; %bb.86:
	s_or_b32 exec_lo, exec_lo, s0
	global_load_b64 v[8:9], v[32:33], off offset:56
	s_mov_b32 s0, 0
.LBB0_87:                               ; =>This Inner Loop Header: Depth=1
	s_wait_loadcnt 0x0
	v_add_f64_e32 v[6:7], v[8:9], v[2:3]
	global_atomic_cmpswap_b64 v[0:1], v[32:33], v[6:9], off offset:56 th:TH_ATOMIC_RETURN scope:SCOPE_DEV
	s_wait_loadcnt 0x0
	v_cmp_eq_u64_e32 vcc_lo, v[0:1], v[8:9]
	v_dual_mov_b32 v9, v1 :: v_dual_mov_b32 v8, v0
	s_wait_alu 0xfffe
	s_or_b32 s0, vcc_lo, s0
	s_wait_alu 0xfffe
	s_and_not1_b32 exec_lo, exec_lo, s0
	s_cbranch_execnz .LBB0_87
; %bb.88:
	s_or_b32 exec_lo, exec_lo, s0
	;; [unrolled: 16-line block ×3, first 2 shown]
	s_cmp_lg_u32 s30, 2
	s_cbranch_scc1 .LBB0_120
.LBB0_91:
	v_add_nc_u32_e32 v61, 1, v36
	s_delay_alu instid0(VALU_DEP_1)
	v_cmp_gt_i32_e32 vcc_lo, s33, v61
	s_and_b32 exec_lo, exec_lo, vcc_lo
	s_cbranch_execz .LBB0_120
; %bb.92:
	s_load_b128 s[0:3], s[46:47], 0x10
	s_wait_loadcnt 0x1
	s_wait_kmcnt 0x0
	v_cmp_neq_f64_e64 s3, 0, v[26:27]
	v_cmp_neq_f64_e64 s20, 0, v[22:23]
	s_mov_b32 s22, 0x652b82fe
	s_mov_b32 s24, 0xfefa39ef
	;; [unrolled: 1-line block ×17, first 2 shown]
	v_mul_f64_e64 v[0:1], s[0:1], s[0:1]
	s_load_b64 s[0:1], s[46:47], 0x40
	s_mov_b32 s46, 0x555502a1
	s_mov_b32 s35, 0x3e5ade15
	;; [unrolled: 1-line block ×10, first 2 shown]
	s_delay_alu instid0(VALU_DEP_1) | instskip(SKIP_1) | instid1(VALU_DEP_2)
	v_div_scale_f64 v[2:3], null, v[0:1], v[0:1], 1.0
	v_div_scale_f64 v[8:9], vcc_lo, 1.0, v[0:1], 1.0
	v_rcp_f64_e32 v[4:5], v[2:3]
	s_delay_alu instid0(TRANS32_DEP_1) | instskip(NEXT) | instid1(VALU_DEP_1)
	v_fma_f64 v[6:7], -v[2:3], v[4:5], 1.0
	v_fma_f64 v[4:5], v[4:5], v[6:7], v[4:5]
	s_delay_alu instid0(VALU_DEP_1) | instskip(NEXT) | instid1(VALU_DEP_1)
	v_fma_f64 v[6:7], -v[2:3], v[4:5], 1.0
	v_fma_f64 v[4:5], v[4:5], v[6:7], v[4:5]
	s_delay_alu instid0(VALU_DEP_1) | instskip(NEXT) | instid1(VALU_DEP_1)
	v_mul_f64_e32 v[6:7], v[8:9], v[4:5]
	v_fma_f64 v[2:3], -v[2:3], v[6:7], v[8:9]
	s_wait_kmcnt 0x0
	v_mul_f64_e64 v[8:9], s[0:1], 0.5
	s_wait_alu 0xfffd
	s_delay_alu instid0(VALU_DEP_2) | instskip(SKIP_1) | instid1(VALU_DEP_3)
	v_div_fmas_f64 v[2:3], v[2:3], v[4:5], v[6:7]
	v_mul_f64_e64 v[4:5], s[0:1], s[0:1]
	v_mul_f64_e32 v[6:7], s[0:1], v[8:9]
	s_delay_alu instid0(VALU_DEP_3) | instskip(NEXT) | instid1(VALU_DEP_3)
	v_div_fixup_f64 v[8:9], v[2:3], v[0:1], 1.0
	v_mul_f64_e32 v[10:11], s[0:1], v[4:5]
	s_branch .LBB0_94
.LBB0_93:                               ;   in Loop: Header=BB0_94 Depth=1
	s_or_b32 exec_lo, exec_lo, s52
	v_add_nc_u32_e32 v61, 1, v61
	s_delay_alu instid0(VALU_DEP_1)
	v_cmp_le_i32_e32 vcc_lo, s33, v61
	s_or_b32 s21, vcc_lo, s21
	s_wait_alu 0xfffe
	s_and_not1_b32 exec_lo, exec_lo, s21
	s_cbranch_execz .LBB0_120
.LBB0_94:                               ; =>This Loop Header: Depth=1
                                        ;     Child Loop BB0_109 Depth 2
                                        ;     Child Loop BB0_111 Depth 2
	;; [unrolled: 1-line block ×6, first 2 shown]
	v_readlane_b32 s4, v81, 4
	v_readlane_b32 s5, v81, 5
	s_mov_b32 s52, exec_lo
	s_wait_alu 0xf1ff
	v_mad_co_i64_i32 v[14:15], null, 0x70, v61, s[4:5]
	global_load_b32 v0, v[14:15], off offset:72
	s_wait_loadcnt 0x0
	v_cmpx_ne_u32_e64 v34, v0
	s_cbranch_execz .LBB0_93
; %bb.95:                               ;   in Loop: Header=BB0_94 Depth=1
	s_clause 0x1
	global_load_b128 v[0:3], v[14:15], off
	global_load_b64 v[20:21], v[14:15], off offset:16
	s_load_b512 s[4:19], s[28:29], 0x0
	v_readlane_b32 s56, v81, 0
	v_readlane_b32 s58, v81, 2
	;; [unrolled: 1-line block ×3, first 2 shown]
	s_load_b64 s[54:55], s[28:29], 0x40
	s_mov_b32 s2, exec_lo
	v_readlane_b32 s57, v81, 1
	s_wait_loadcnt 0x1
	v_add_f64_e64 v[0:1], v[16:17], -v[0:1]
	v_add_f64_e64 v[2:3], v[18:19], -v[2:3]
	s_wait_loadcnt 0x0
	v_add_f64_e64 v[37:38], v[12:13], -v[20:21]
	s_wait_kmcnt 0x0
	s_delay_alu instid0(VALU_DEP_3) | instskip(SKIP_2) | instid1(VALU_DEP_3)
	v_fma_f64 v[26:27], v[0:1], s[4:5], 0
	v_fma_f64 v[20:21], v[0:1], s[10:11], 0
	;; [unrolled: 1-line block ×4, first 2 shown]
	s_delay_alu instid0(VALU_DEP_3) | instskip(NEXT) | instid1(VALU_DEP_3)
	v_fma_f64 v[20:21], v[2:3], s[12:13], v[20:21]
	v_fma_f64 v[35:36], v[2:3], s[18:19], v[35:36]
	s_delay_alu instid0(VALU_DEP_3) | instskip(NEXT) | instid1(VALU_DEP_3)
	v_fma_f64 v[26:27], v[37:38], s[8:9], v[26:27]
	v_fma_f64 v[20:21], v[37:38], s[14:15], v[20:21]
	s_load_b512 s[4:19], s[58:59], 0x0
	s_delay_alu instid0(VALU_DEP_3) | instskip(NEXT) | instid1(VALU_DEP_3)
	v_fma_f64 v[35:36], v[37:38], s[54:55], v[35:36]
	v_rndne_f64_e32 v[26:27], v[26:27]
	s_delay_alu instid0(VALU_DEP_3) | instskip(NEXT) | instid1(VALU_DEP_3)
	v_rndne_f64_e32 v[20:21], v[20:21]
	v_rndne_f64_e32 v[35:36], v[35:36]
	s_wait_kmcnt 0x0
	s_delay_alu instid0(VALU_DEP_3) | instskip(SKIP_3) | instid1(VALU_DEP_3)
	v_fma_f64 v[39:40], v[26:27], s[10:11], 0
	v_fma_f64 v[41:42], v[26:27], s[4:5], 0
	v_fma_f64 v[26:27], v[26:27], s[16:17], 0
	s_load_b64 s[4:5], s[58:59], 0x40
	v_fma_f64 v[39:40], v[20:21], s[12:13], v[39:40]
	s_delay_alu instid0(VALU_DEP_3) | instskip(NEXT) | instid1(VALU_DEP_3)
	v_fma_f64 v[41:42], v[20:21], s[6:7], v[41:42]
	v_fma_f64 v[26:27], v[20:21], s[18:19], v[26:27]
	s_delay_alu instid0(VALU_DEP_3) | instskip(NEXT) | instid1(VALU_DEP_3)
	v_fma_f64 v[39:40], v[35:36], s[14:15], v[39:40]
	v_fma_f64 v[41:42], v[35:36], s[8:9], v[41:42]
	s_wait_kmcnt 0x0
	s_delay_alu instid0(VALU_DEP_3) | instskip(NEXT) | instid1(VALU_DEP_3)
	v_fma_f64 v[35:36], v[35:36], s[4:5], v[26:27]
	v_add_f64_e64 v[20:21], v[2:3], -v[39:40]
	s_delay_alu instid0(VALU_DEP_3) | instskip(NEXT) | instid1(VALU_DEP_3)
	v_add_f64_e64 v[26:27], v[0:1], -v[41:42]
	v_add_f64_e64 v[35:36], v[37:38], -v[35:36]
	s_delay_alu instid0(VALU_DEP_3) | instskip(NEXT) | instid1(VALU_DEP_1)
	v_mul_f64_e32 v[39:40], v[20:21], v[20:21]
	v_fma_f64 v[39:40], v[26:27], v[26:27], v[39:40]
	s_delay_alu instid0(VALU_DEP_1) | instskip(NEXT) | instid1(VALU_DEP_1)
	v_fma_f64 v[39:40], v[35:36], v[35:36], v[39:40]
	v_cmpx_nle_f64_e32 0, v[39:40]
	s_cbranch_execz .LBB0_97
; %bb.96:                               ;   in Loop: Header=BB0_94 Depth=1
	v_mul_f64_e32 v[20:21], v[2:3], v[2:3]
	v_dual_mov_b32 v27, v1 :: v_dual_mov_b32 v26, v0
	v_dual_mov_b32 v35, v37 :: v_dual_mov_b32 v36, v38
	s_delay_alu instid0(VALU_DEP_3) | instskip(NEXT) | instid1(VALU_DEP_1)
	v_fma_f64 v[20:21], v[0:1], v[0:1], v[20:21]
	v_fma_f64 v[39:40], v[37:38], v[37:38], v[20:21]
	v_dual_mov_b32 v21, v3 :: v_dual_mov_b32 v20, v2
.LBB0_97:                               ;   in Loop: Header=BB0_94 Depth=1
	s_or_b32 exec_lo, exec_lo, s2
	s_delay_alu instid0(VALU_DEP_2)
	v_cmp_gt_f64_e32 vcc_lo, 0x10000000, v[39:40]
	v_readlane_b32 s4, v81, 0
	v_readlane_b32 s5, v81, 1
	;; [unrolled: 1-line block ×4, first 2 shown]
	s_wait_alu 0xfffd
	v_cndmask_b32_e64 v0, 0, 0x100, vcc_lo
	s_delay_alu instid0(VALU_DEP_1) | instskip(NEXT) | instid1(VALU_DEP_1)
	v_ldexp_f64 v[0:1], v[39:40], v0
	v_rsq_f64_e32 v[2:3], v[0:1]
	s_delay_alu instid0(TRANS32_DEP_1) | instskip(SKIP_1) | instid1(VALU_DEP_1)
	v_mul_f64_e32 v[37:38], v[0:1], v[2:3]
	v_mul_f64_e32 v[2:3], 0.5, v[2:3]
	v_fma_f64 v[39:40], -v[2:3], v[37:38], 0.5
	s_delay_alu instid0(VALU_DEP_1) | instskip(SKIP_1) | instid1(VALU_DEP_2)
	v_fma_f64 v[37:38], v[37:38], v[39:40], v[37:38]
	v_fma_f64 v[2:3], v[2:3], v[39:40], v[2:3]
	v_fma_f64 v[39:40], -v[37:38], v[37:38], v[0:1]
	s_delay_alu instid0(VALU_DEP_1) | instskip(NEXT) | instid1(VALU_DEP_1)
	v_fma_f64 v[37:38], v[39:40], v[2:3], v[37:38]
	v_fma_f64 v[39:40], -v[37:38], v[37:38], v[0:1]
	s_delay_alu instid0(VALU_DEP_1) | instskip(SKIP_2) | instid1(VALU_DEP_2)
	v_fma_f64 v[2:3], v[39:40], v[2:3], v[37:38]
	v_cndmask_b32_e64 v37, 0, 0xffffff80, vcc_lo
	v_cmp_class_f64_e64 vcc_lo, v[0:1], 0x260
	v_ldexp_f64 v[2:3], v[2:3], v37
	s_wait_alu 0xfffd
	s_delay_alu instid0(VALU_DEP_1) | instskip(SKIP_1) | instid1(VALU_DEP_1)
	v_dual_cndmask_b32 v44, v3, v1 :: v_dual_cndmask_b32 v43, v2, v0
	s_wait_alu 0xf1ff
	v_cmp_nlt_f64_e32 vcc_lo, s[4:5], v[43:44]
	s_and_b32 exec_lo, exec_lo, vcc_lo
	s_cbranch_execz .LBB0_93
; %bb.98:                               ;   in Loop: Header=BB0_94 Depth=1
	v_div_scale_f64 v[37:38], null, v[43:44], v[43:44], 1.0
	global_load_b64 v[59:60], v[14:15], off offset:40
	v_mul_f64_e32 v[53:54], v[20:21], v[20:21]
	v_mul_f64_e32 v[55:56], v[26:27], v[26:27]
	;; [unrolled: 1-line block ×3, first 2 shown]
	v_rcp_f64_e32 v[0:1], v[37:38]
	s_delay_alu instid0(TRANS32_DEP_1) | instskip(NEXT) | instid1(VALU_DEP_1)
	v_fma_f64 v[2:3], -v[37:38], v[0:1], 1.0
	v_fma_f64 v[39:40], v[0:1], v[2:3], v[0:1]
	s_clause 0x1
	global_load_b128 v[0:3], v[14:15], off offset:80
	global_load_b64 v[41:42], v[14:15], off offset:96
	v_fma_f64 v[45:46], -v[37:38], v[39:40], 1.0
	s_delay_alu instid0(VALU_DEP_1) | instskip(SKIP_1) | instid1(VALU_DEP_1)
	v_fma_f64 v[39:40], v[39:40], v[45:46], v[39:40]
	v_div_scale_f64 v[45:46], vcc_lo, 1.0, v[43:44], 1.0
	v_mul_f64_e32 v[47:48], v[45:46], v[39:40]
	s_delay_alu instid0(VALU_DEP_1) | instskip(SKIP_3) | instid1(VALU_DEP_3)
	v_fma_f64 v[37:38], -v[37:38], v[47:48], v[45:46]
	v_mov_b32_e32 v45, 0
	v_mov_b32_e32 v46, 0
	s_wait_alu 0xfffd
	v_div_fmas_f64 v[37:38], v[37:38], v[39:40], v[47:48]
	v_mov_b32_e32 v39, 0
	v_mov_b32_e32 v40, 0
	s_wait_loadcnt 0x2
	v_cmp_neq_f64_e32 vcc_lo, 0, v[59:60]
	s_delay_alu instid0(VALU_DEP_4) | instskip(SKIP_3) | instid1(VALU_DEP_3)
	v_div_fixup_f64 v[49:50], v[37:38], v[43:44], 1.0
	v_mov_b32_e32 v37, 0
	v_mov_b32_e32 v38, 0
	s_and_b32 s4, vcc_lo, s3
	v_mul_f64_e32 v[51:52], v[49:50], v[49:50]
	s_delay_alu instid0(VALU_DEP_1)
	v_mul_f64_e32 v[47:48], v[49:50], v[51:52]
	s_wait_alu 0xfffe
	s_and_saveexec_b32 s2, s4
	s_cbranch_execnz .LBB0_101
; %bb.99:                               ;   in Loop: Header=BB0_94 Depth=1
	s_wait_alu 0xfffe
	s_or_b32 exec_lo, exec_lo, s2
	s_and_saveexec_b32 s2, s20
	s_cbranch_execnz .LBB0_102
.LBB0_100:                              ;   in Loop: Header=BB0_94 Depth=1
	s_wait_alu 0xfffe
	s_or_b32 exec_lo, exec_lo, s2
	s_and_saveexec_b32 s4, s3
	s_cbranch_execnz .LBB0_105
	s_branch .LBB0_108
.LBB0_101:                              ;   in Loop: Header=BB0_94 Depth=1
	v_mul_f64_e32 v[37:38], 0xc0080000, v[20:21]
	v_fma_f64 v[39:40], v[55:56], -2.0, v[53:54]
	v_add_f64_e32 v[45:46], v[53:54], v[57:58]
	v_mul_f64_e32 v[62:63], 0xc0080000, v[26:27]
	v_fma_f64 v[64:65], v[53:54], -2.0, v[55:56]
	v_add_f64_e32 v[66:67], v[55:56], v[57:58]
	v_mul_f64_e32 v[68:69], v[8:9], v[20:21]
	v_mul_f64_e32 v[72:73], v[8:9], v[26:27]
	v_fma_f64 v[74:75], v[57:58], -2.0, v[55:56]
	v_mul_f64_e32 v[59:60], v[47:48], v[59:60]
	v_mul_f64_e32 v[37:38], v[35:36], v[37:38]
	v_add_f64_e32 v[39:40], v[57:58], v[39:40]
	v_mul_f64_e32 v[45:46], v[8:9], v[45:46]
	v_mul_f64_e32 v[70:71], v[20:21], v[62:63]
	;; [unrolled: 1-line block ×3, first 2 shown]
	v_add_f64_e32 v[64:65], v[57:58], v[64:65]
	v_mul_f64_e32 v[66:67], v[8:9], v[66:67]
	v_mul_f64_e32 v[37:38], v[51:52], v[37:38]
	v_fma_f64 v[39:40], v[51:52], v[39:40], -v[45:46]
	v_mul_f64_e32 v[45:46], v[51:52], v[70:71]
	v_mul_f64_e32 v[62:63], v[51:52], v[62:63]
	v_fma_f64 v[64:65], v[51:52], v[64:65], -v[66:67]
	v_add_f64_e32 v[66:67], v[55:56], v[53:54]
	v_fma_f64 v[37:38], v[35:36], v[68:69], v[37:38]
	v_add_f64_e32 v[68:69], v[53:54], v[74:75]
	v_mul_f64_e32 v[39:40], v[28:29], v[39:40]
	v_fma_f64 v[45:46], v[20:21], v[72:73], v[45:46]
	v_fma_f64 v[62:63], v[35:36], v[72:73], v[62:63]
	v_mul_f64_e32 v[64:65], v[30:31], v[64:65]
	v_mul_f64_e32 v[66:67], v[8:9], v[66:67]
	;; [unrolled: 1-line block ×3, first 2 shown]
	v_fma_f64 v[39:40], v[30:31], v[45:46], v[39:40]
	s_delay_alu instid0(VALU_DEP_4) | instskip(NEXT) | instid1(VALU_DEP_4)
	v_fma_f64 v[45:46], v[28:29], v[45:46], v[64:65]
	v_fma_f64 v[66:67], v[51:52], v[68:69], -v[66:67]
	s_delay_alu instid0(VALU_DEP_4) | instskip(NEXT) | instid1(VALU_DEP_4)
	v_fma_f64 v[64:65], v[28:29], v[62:63], v[70:71]
	v_fma_f64 v[39:40], v[24:25], v[62:63], v[39:40]
	s_delay_alu instid0(VALU_DEP_4) | instskip(NEXT) | instid1(VALU_DEP_3)
	v_fma_f64 v[37:38], v[24:25], v[37:38], v[45:46]
	v_fma_f64 v[62:63], v[24:25], v[66:67], v[64:65]
	s_delay_alu instid0(VALU_DEP_3) | instskip(NEXT) | instid1(VALU_DEP_3)
	v_fma_f64 v[45:46], v[39:40], v[59:60], 0
	v_fma_f64 v[39:40], v[37:38], v[59:60], 0
	s_delay_alu instid0(VALU_DEP_3)
	v_fma_f64 v[37:38], v[62:63], v[59:60], 0
	s_wait_alu 0xfffe
	s_or_b32 exec_lo, exec_lo, s2
	s_and_saveexec_b32 s2, s20
	s_cbranch_execz .LBB0_100
.LBB0_102:                              ;   in Loop: Header=BB0_94 Depth=1
	global_load_b64 v[59:60], v[14:15], off offset:104
	s_mov_b32 s4, exec_lo
	s_wait_loadcnt 0x0
	v_cmpx_neq_f64_e32 0, v[59:60]
	s_cbranch_execz .LBB0_104
; %bb.103:                              ;   in Loop: Header=BB0_94 Depth=1
	v_mul_f64_e32 v[59:60], 0xc0080000, v[26:27]
	v_mul_f64_e32 v[62:63], 0xc0080000, v[20:21]
	v_fma_f64 v[64:65], v[53:54], -2.0, v[55:56]
	v_add_f64_e32 v[66:67], v[55:56], v[57:58]
	v_fma_f64 v[70:71], v[55:56], -2.0, v[53:54]
	v_add_f64_e32 v[72:73], v[53:54], v[57:58]
	v_mul_f64_e32 v[74:75], v[8:9], v[26:27]
	v_mul_f64_e32 v[76:77], v[8:9], v[20:21]
	v_fma_f64 v[78:79], v[57:58], -2.0, v[55:56]
	v_add_f64_e32 v[55:56], v[55:56], v[53:54]
	v_mul_f64_e32 v[68:69], v[20:21], v[59:60]
	v_mul_f64_e32 v[62:63], v[35:36], v[62:63]
	;; [unrolled: 1-line block ×3, first 2 shown]
	v_add_f64_e32 v[64:65], v[57:58], v[64:65]
	v_mul_f64_e32 v[66:67], v[8:9], v[66:67]
	v_add_f64_e32 v[57:58], v[57:58], v[70:71]
	v_mul_f64_e32 v[70:71], v[8:9], v[72:73]
	;; [unrolled: 2-line block ×3, first 2 shown]
	v_mul_f64_e32 v[68:69], v[51:52], v[68:69]
	v_mul_f64_e32 v[62:63], v[51:52], v[62:63]
	;; [unrolled: 1-line block ×3, first 2 shown]
	v_fma_f64 v[64:65], v[51:52], v[64:65], -v[66:67]
	v_fma_f64 v[57:58], v[51:52], v[57:58], -v[70:71]
	;; [unrolled: 1-line block ×3, first 2 shown]
	v_fma_f64 v[66:67], v[20:21], v[74:75], v[68:69]
	v_fma_f64 v[62:63], v[35:36], v[76:77], v[62:63]
	;; [unrolled: 1-line block ×3, first 2 shown]
	v_mul_f64_e32 v[64:65], v[64:65], v[2:3]
	s_delay_alu instid0(VALU_DEP_4) | instskip(NEXT) | instid1(VALU_DEP_4)
	v_mul_f64_e32 v[68:69], v[66:67], v[2:3]
	v_mul_f64_e32 v[70:71], v[62:63], v[2:3]
	s_delay_alu instid0(VALU_DEP_3) | instskip(SKIP_1) | instid1(VALU_DEP_4)
	v_fma_f64 v[55:56], v[66:67], v[0:1], v[64:65]
	v_mul_f64_e32 v[66:67], v[47:48], v[22:23]
	v_fma_f64 v[57:58], v[57:58], v[0:1], v[68:69]
	s_delay_alu instid0(VALU_DEP_4) | instskip(NEXT) | instid1(VALU_DEP_4)
	v_fma_f64 v[64:65], v[59:60], v[0:1], v[70:71]
	v_fma_f64 v[55:56], v[62:63], v[41:42], v[55:56]
	s_delay_alu instid0(VALU_DEP_3) | instskip(NEXT) | instid1(VALU_DEP_3)
	v_fma_f64 v[57:58], v[59:60], v[41:42], v[57:58]
	v_fma_f64 v[53:54], v[53:54], v[41:42], v[64:65]
	s_delay_alu instid0(VALU_DEP_3) | instskip(NEXT) | instid1(VALU_DEP_3)
	v_fma_f64 v[39:40], -v[66:67], v[55:56], v[39:40]
	v_fma_f64 v[45:46], -v[66:67], v[57:58], v[45:46]
	s_delay_alu instid0(VALU_DEP_3)
	v_fma_f64 v[37:38], -v[66:67], v[53:54], v[37:38]
.LBB0_104:                              ;   in Loop: Header=BB0_94 Depth=1
	s_wait_alu 0xfffe
	s_or_b32 exec_lo, exec_lo, s4
	s_delay_alu instid0(SALU_CYCLE_1)
	s_or_b32 exec_lo, exec_lo, s2
	s_and_saveexec_b32 s4, s3
	s_cbranch_execz .LBB0_108
.LBB0_105:                              ;   in Loop: Header=BB0_94 Depth=1
	global_load_b64 v[53:54], v[14:15], off offset:104
	s_mov_b32 s5, exec_lo
	s_wait_loadcnt 0x0
	v_cmpx_neq_f64_e32 0, v[53:54]
	s_cbranch_execz .LBB0_107
; %bb.106:                              ;   in Loop: Header=BB0_94 Depth=1
	v_mul_f64_e64 v[53:54], v[43:44], -s[0:1]
	v_mul_f64_e32 v[59:60], v[43:44], v[43:44]
	v_mul_f64_e32 v[74:75], v[51:52], v[47:48]
	;; [unrolled: 1-line block ×3, first 2 shown]
	s_delay_alu instid0(VALU_DEP_4) | instskip(NEXT) | instid1(VALU_DEP_4)
	v_mul_f64_e32 v[55:56], s[22:23], v[53:54]
	v_mul_f64_e32 v[64:65], v[43:44], v[59:60]
	s_delay_alu instid0(VALU_DEP_4) | instskip(SKIP_1) | instid1(VALU_DEP_4)
	v_mul_f64_e32 v[51:52], v[51:52], v[74:75]
	v_cmp_ngt_f64_e64 s2, 0xc090cc00, v[53:54]
	v_rndne_f64_e32 v[55:56], v[55:56]
	s_delay_alu instid0(VALU_DEP_4) | instskip(NEXT) | instid1(VALU_DEP_4)
	v_mul_f64_e32 v[64:65], v[10:11], v[64:65]
	v_mul_f64_e32 v[51:52], 0xc02e0000, v[51:52]
	s_delay_alu instid0(VALU_DEP_3) | instskip(NEXT) | instid1(VALU_DEP_3)
	v_fma_f64 v[57:58], v[55:56], s[24:25], v[53:54]
	v_div_scale_f64 v[66:67], null, 0x40180000, 0x40180000, v[64:65]
	v_div_scale_f64 v[72:73], vcc_lo, v[64:65], 0x40180000, v[64:65]
	v_cvt_i32_f64_e32 v78, v[55:56]
	s_delay_alu instid0(VALU_DEP_4) | instskip(NEXT) | instid1(VALU_DEP_4)
	v_fma_f64 v[57:58], v[55:56], s[26:27], v[57:58]
	v_rcp_f64_e32 v[68:69], v[66:67]
	s_delay_alu instid0(VALU_DEP_1) | instskip(NEXT) | instid1(TRANS32_DEP_1)
	v_fma_f64 v[62:63], v[57:58], s[34:35], s[30:31]
	v_fma_f64 v[70:71], -v[66:67], v[68:69], 1.0
	s_delay_alu instid0(VALU_DEP_2) | instskip(NEXT) | instid1(VALU_DEP_2)
	v_fma_f64 v[62:63], v[57:58], v[62:63], s[36:37]
	v_fma_f64 v[68:69], v[68:69], v[70:71], v[68:69]
	s_delay_alu instid0(VALU_DEP_2) | instskip(NEXT) | instid1(VALU_DEP_2)
	v_fma_f64 v[62:63], v[57:58], v[62:63], s[38:39]
	v_fma_f64 v[70:71], -v[66:67], v[68:69], 1.0
	s_delay_alu instid0(VALU_DEP_2) | instskip(NEXT) | instid1(VALU_DEP_2)
	v_fma_f64 v[62:63], v[57:58], v[62:63], s[40:41]
	v_fma_f64 v[68:69], v[68:69], v[70:71], v[68:69]
	s_delay_alu instid0(VALU_DEP_2) | instskip(NEXT) | instid1(VALU_DEP_2)
	v_fma_f64 v[62:63], v[57:58], v[62:63], s[42:43]
	v_mul_f64_e32 v[70:71], v[72:73], v[68:69]
	s_delay_alu instid0(VALU_DEP_2) | instskip(NEXT) | instid1(VALU_DEP_2)
	v_fma_f64 v[62:63], v[57:58], v[62:63], s[44:45]
	v_fma_f64 v[66:67], -v[66:67], v[70:71], v[72:73]
	v_fma_f64 v[72:73], v[28:29], v[26:27], v[76:77]
	v_fma_f64 v[76:77], s[0:1], v[49:50], v[4:5]
	s_delay_alu instid0(VALU_DEP_4) | instskip(SKIP_1) | instid1(VALU_DEP_4)
	v_fma_f64 v[62:63], v[57:58], v[62:63], s[46:47]
	s_wait_alu 0xfffd
	v_div_fmas_f64 v[66:67], v[66:67], v[68:69], v[70:71]
	v_mul_f64_e32 v[68:69], v[30:31], v[2:3]
	v_cmp_nlt_f64_e32 vcc_lo, 0x40900000, v[53:54]
	s_delay_alu instid0(VALU_DEP_4) | instskip(NEXT) | instid1(VALU_DEP_4)
	v_fma_f64 v[62:63], v[57:58], v[62:63], s[48:49]
	v_div_fixup_f64 v[64:65], v[66:67], 0x40180000, v[64:65]
	s_delay_alu instid0(VALU_DEP_4) | instskip(SKIP_1) | instid1(VALU_DEP_4)
	v_fma_f64 v[53:54], v[28:29], v[0:1], v[68:69]
	v_mul_f64_e32 v[68:69], 0x40080000, v[74:75]
	v_fma_f64 v[62:63], v[57:58], v[62:63], s[50:51]
	s_delay_alu instid0(VALU_DEP_3) | instskip(NEXT) | instid1(VALU_DEP_2)
	v_fma_f64 v[53:54], v[24:25], v[41:42], v[53:54]
	v_fma_f64 v[62:63], v[57:58], v[62:63], 1.0
	s_delay_alu instid0(VALU_DEP_2) | instskip(NEXT) | instid1(VALU_DEP_2)
	v_mul_f64_e64 v[47:48], v[47:48], -v[53:54]
	v_fma_f64 v[55:56], v[57:58], v[62:63], 1.0
	v_mul_f64_e32 v[57:58], v[20:21], v[2:3]
	v_fma_f64 v[62:63], s[0:1], v[43:44], 1.0
	v_mul_f64_e32 v[43:44], 0.5, v[43:44]
	s_delay_alu instid0(VALU_DEP_4) | instskip(NEXT) | instid1(VALU_DEP_4)
	v_ldexp_f64 v[55:56], v[55:56], v78
	v_fma_f64 v[57:58], v[26:27], v[0:1], v[57:58]
	s_delay_alu instid0(VALU_DEP_4)
	v_fma_f64 v[59:60], v[6:7], v[59:60], v[62:63]
	v_fma_f64 v[62:63], v[24:25], v[35:36], v[72:73]
	v_mul_f64_e32 v[43:44], s[0:1], v[43:44]
	v_mul_f64_e32 v[72:73], v[68:69], v[53:54]
	s_wait_alu 0xfffd
	v_cndmask_b32_e32 v66, 0x7ff00000, v56, vcc_lo
	v_fma_f64 v[56:57], v[35:36], v[41:42], v[57:58]
	v_add_f64_e32 v[64:65], v[59:60], v[64:65]
	v_mul_f64_e32 v[51:52], v[62:63], v[51:52]
	s_and_b32 vcc_lo, s2, vcc_lo
	v_cndmask_b32_e64 v67, 0, v66, s2
	s_wait_alu 0xfffe
	v_cndmask_b32_e32 v66, 0, v55, vcc_lo
	v_mul_f64_e32 v[43:44], s[0:1], v[43:44]
	v_mul_f64_e32 v[62:63], v[62:63], v[68:69]
	s_delay_alu instid0(VALU_DEP_3)
	v_fma_f64 v[74:75], -v[59:60], v[66:67], 1.0
	v_mul_f64_e32 v[49:50], v[49:50], v[66:67]
	v_mul_f64_e32 v[78:79], v[68:69], v[56:57]
	v_fma_f64 v[70:71], -v[64:65], v[66:67], 1.0
	v_mul_f64_e32 v[51:52], v[51:52], v[56:57]
	v_mul_f64_e32 v[68:69], v[76:77], v[66:67]
	v_fma_f64 v[43:44], s[0:1], v[43:44], v[76:77]
	v_mul_f64_e32 v[55:56], v[62:63], v[56:57]
	v_mul_f64_e32 v[49:50], s[0:1], v[49:50]
	;; [unrolled: 1-line block ×5, first 2 shown]
	s_delay_alu instid0(VALU_DEP_4) | instskip(NEXT) | instid1(VALU_DEP_3)
	v_fma_f64 v[58:59], v[59:60], v[49:50], -v[68:69]
	v_fma_f64 v[51:52], v[74:75], v[72:73], v[51:52]
	v_mul_f64_e32 v[72:73], v[70:71], v[78:79]
	s_delay_alu instid0(VALU_DEP_4) | instskip(NEXT) | instid1(VALU_DEP_4)
	v_fma_f64 v[43:44], v[64:65], v[49:50], -v[43:44]
	v_mul_f64_e32 v[47:48], v[58:59], v[47:48]
	s_delay_alu instid0(VALU_DEP_4) | instskip(SKIP_3) | instid1(VALU_DEP_4)
	v_mul_f64_e32 v[74:75], v[26:27], v[51:52]
	v_mul_f64_e32 v[76:77], v[20:21], v[51:52]
	v_mul_f64_e32 v[51:52], v[35:36], v[51:52]
	v_mul_f64_e32 v[43:44], v[43:44], v[55:56]
	v_fma_f64 v[66:67], v[28:29], v[72:73], v[74:75]
	s_delay_alu instid0(VALU_DEP_4) | instskip(NEXT) | instid1(VALU_DEP_4)
	v_fma_f64 v[68:69], v[30:31], v[72:73], v[76:77]
	v_fma_f64 v[51:52], v[24:25], v[72:73], v[51:52]
	s_delay_alu instid0(VALU_DEP_3) | instskip(NEXT) | instid1(VALU_DEP_3)
	v_fma_f64 v[0:1], v[53:54], v[0:1], v[66:67]
	v_fma_f64 v[2:3], v[53:54], v[2:3], v[68:69]
	s_delay_alu instid0(VALU_DEP_3) | instskip(NEXT) | instid1(VALU_DEP_3)
	v_fma_f64 v[41:42], v[53:54], v[41:42], v[51:52]
	v_fma_f64 v[0:1], v[26:27], v[47:48], v[0:1]
	s_delay_alu instid0(VALU_DEP_3) | instskip(NEXT) | instid1(VALU_DEP_3)
	v_fma_f64 v[2:3], v[20:21], v[47:48], v[2:3]
	v_fma_f64 v[41:42], v[35:36], v[47:48], v[41:42]
	s_delay_alu instid0(VALU_DEP_3) | instskip(NEXT) | instid1(VALU_DEP_3)
	v_fma_f64 v[0:1], v[26:27], v[43:44], v[0:1]
	v_fma_f64 v[2:3], v[20:21], v[43:44], v[2:3]
	s_delay_alu instid0(VALU_DEP_3) | instskip(NEXT) | instid1(VALU_DEP_3)
	v_fma_f64 v[20:21], v[35:36], v[43:44], v[41:42]
	v_add_f64_e32 v[45:46], v[45:46], v[0:1]
	s_delay_alu instid0(VALU_DEP_3) | instskip(NEXT) | instid1(VALU_DEP_3)
	v_add_f64_e32 v[39:40], v[39:40], v[2:3]
	v_add_f64_e32 v[37:38], v[37:38], v[20:21]
.LBB0_107:                              ;   in Loop: Header=BB0_94 Depth=1
	s_wait_alu 0xfffe
	s_or_b32 exec_lo, exec_lo, s5
.LBB0_108:                              ;   in Loop: Header=BB0_94 Depth=1
	s_wait_alu 0xfffe
	s_or_b32 exec_lo, exec_lo, s4
	s_wait_loadcnt 0x1
	global_load_b64 v[2:3], v[32:33], off offset:48
	s_mov_b32 s2, 0
.LBB0_109:                              ;   Parent Loop BB0_94 Depth=1
                                        ; =>  This Inner Loop Header: Depth=2
	s_wait_loadcnt 0x0
	v_add_f64_e32 v[0:1], v[2:3], v[45:46]
	global_atomic_cmpswap_b64 v[0:1], v[32:33], v[0:3], off offset:48 th:TH_ATOMIC_RETURN scope:SCOPE_DEV
	s_wait_loadcnt 0x0
	v_cmp_eq_u64_e32 vcc_lo, v[0:1], v[2:3]
	v_dual_mov_b32 v3, v1 :: v_dual_mov_b32 v2, v0
	s_wait_alu 0xfffe
	s_or_b32 s2, vcc_lo, s2
	s_wait_alu 0xfffe
	s_and_not1_b32 exec_lo, exec_lo, s2
	s_cbranch_execnz .LBB0_109
; %bb.110:                              ;   in Loop: Header=BB0_94 Depth=1
	s_or_b32 exec_lo, exec_lo, s2
	global_load_b64 v[2:3], v[14:15], off offset:48
	s_mov_b32 s2, 0
.LBB0_111:                              ;   Parent Loop BB0_94 Depth=1
                                        ; =>  This Inner Loop Header: Depth=2
	s_wait_loadcnt 0x0
	v_add_f64_e64 v[0:1], v[2:3], -v[45:46]
	global_atomic_cmpswap_b64 v[0:1], v[14:15], v[0:3], off offset:48 th:TH_ATOMIC_RETURN scope:SCOPE_DEV
	s_wait_loadcnt 0x0
	v_cmp_eq_u64_e32 vcc_lo, v[0:1], v[2:3]
	v_dual_mov_b32 v3, v1 :: v_dual_mov_b32 v2, v0
	s_wait_alu 0xfffe
	s_or_b32 s2, vcc_lo, s2
	s_wait_alu 0xfffe
	s_and_not1_b32 exec_lo, exec_lo, s2
	s_cbranch_execnz .LBB0_111
; %bb.112:                              ;   in Loop: Header=BB0_94 Depth=1
	s_or_b32 exec_lo, exec_lo, s2
	global_load_b64 v[2:3], v[32:33], off offset:56
	s_mov_b32 s2, 0
.LBB0_113:                              ;   Parent Loop BB0_94 Depth=1
                                        ; =>  This Inner Loop Header: Depth=2
	s_wait_loadcnt 0x0
	v_add_f64_e32 v[0:1], v[2:3], v[39:40]
	global_atomic_cmpswap_b64 v[0:1], v[32:33], v[0:3], off offset:56 th:TH_ATOMIC_RETURN scope:SCOPE_DEV
	s_wait_loadcnt 0x0
	v_cmp_eq_u64_e32 vcc_lo, v[0:1], v[2:3]
	v_dual_mov_b32 v3, v1 :: v_dual_mov_b32 v2, v0
	s_wait_alu 0xfffe
	s_or_b32 s2, vcc_lo, s2
	s_wait_alu 0xfffe
	s_and_not1_b32 exec_lo, exec_lo, s2
	s_cbranch_execnz .LBB0_113
; %bb.114:                              ;   in Loop: Header=BB0_94 Depth=1
	s_or_b32 exec_lo, exec_lo, s2
	global_load_b64 v[2:3], v[14:15], off offset:56
	s_mov_b32 s2, 0
.LBB0_115:                              ;   Parent Loop BB0_94 Depth=1
                                        ; =>  This Inner Loop Header: Depth=2
	s_wait_loadcnt 0x0
	v_add_f64_e64 v[0:1], v[2:3], -v[39:40]
	global_atomic_cmpswap_b64 v[0:1], v[14:15], v[0:3], off offset:56 th:TH_ATOMIC_RETURN scope:SCOPE_DEV
	s_wait_loadcnt 0x0
	v_cmp_eq_u64_e32 vcc_lo, v[0:1], v[2:3]
	v_dual_mov_b32 v3, v1 :: v_dual_mov_b32 v2, v0
	s_wait_alu 0xfffe
	s_or_b32 s2, vcc_lo, s2
	s_wait_alu 0xfffe
	s_and_not1_b32 exec_lo, exec_lo, s2
	s_cbranch_execnz .LBB0_115
; %bb.116:                              ;   in Loop: Header=BB0_94 Depth=1
	s_or_b32 exec_lo, exec_lo, s2
	global_load_b64 v[2:3], v[32:33], off offset:64
	s_mov_b32 s2, 0
.LBB0_117:                              ;   Parent Loop BB0_94 Depth=1
                                        ; =>  This Inner Loop Header: Depth=2
	s_wait_loadcnt 0x0
	v_add_f64_e32 v[0:1], v[2:3], v[37:38]
	global_atomic_cmpswap_b64 v[0:1], v[32:33], v[0:3], off offset:64 th:TH_ATOMIC_RETURN scope:SCOPE_DEV
	s_wait_loadcnt 0x0
	v_cmp_eq_u64_e32 vcc_lo, v[0:1], v[2:3]
	v_dual_mov_b32 v3, v1 :: v_dual_mov_b32 v2, v0
	s_wait_alu 0xfffe
	s_or_b32 s2, vcc_lo, s2
	s_wait_alu 0xfffe
	s_and_not1_b32 exec_lo, exec_lo, s2
	s_cbranch_execnz .LBB0_117
; %bb.118:                              ;   in Loop: Header=BB0_94 Depth=1
	s_or_b32 exec_lo, exec_lo, s2
	global_load_b64 v[2:3], v[14:15], off offset:64
	s_mov_b32 s2, 0
.LBB0_119:                              ;   Parent Loop BB0_94 Depth=1
                                        ; =>  This Inner Loop Header: Depth=2
	s_wait_loadcnt 0x0
	v_add_f64_e64 v[0:1], v[2:3], -v[37:38]
	global_atomic_cmpswap_b64 v[0:1], v[14:15], v[0:3], off offset:64 th:TH_ATOMIC_RETURN scope:SCOPE_DEV
	s_wait_loadcnt 0x0
	v_cmp_eq_u64_e32 vcc_lo, v[0:1], v[2:3]
	v_dual_mov_b32 v3, v1 :: v_dual_mov_b32 v2, v0
	s_wait_alu 0xfffe
	s_or_b32 s2, vcc_lo, s2
	s_wait_alu 0xfffe
	s_and_not1_b32 exec_lo, exec_lo, s2
	s_cbranch_execnz .LBB0_119
	s_branch .LBB0_93
.LBB0_120:
	s_endpgm
	.section	.rodata,"a",@progbits
	.p2align	6, 0x0
	.amdhsa_kernel _Z20calculateForceKernelP6atom_tidPKdS2_idiid
		.amdhsa_group_segment_fixed_size 0
		.amdhsa_private_segment_fixed_size 0
		.amdhsa_kernarg_size 328
		.amdhsa_user_sgpr_count 2
		.amdhsa_user_sgpr_dispatch_ptr 0
		.amdhsa_user_sgpr_queue_ptr 0
		.amdhsa_user_sgpr_kernarg_segment_ptr 1
		.amdhsa_user_sgpr_dispatch_id 0
		.amdhsa_user_sgpr_private_segment_size 0
		.amdhsa_wavefront_size32 1
		.amdhsa_uses_dynamic_stack 0
		.amdhsa_enable_private_segment 0
		.amdhsa_system_sgpr_workgroup_id_x 1
		.amdhsa_system_sgpr_workgroup_id_y 0
		.amdhsa_system_sgpr_workgroup_id_z 0
		.amdhsa_system_sgpr_workgroup_info 0
		.amdhsa_system_vgpr_workitem_id 0
		.amdhsa_next_free_vgpr 82
		.amdhsa_next_free_sgpr 105
		.amdhsa_reserve_vcc 1
		.amdhsa_float_round_mode_32 0
		.amdhsa_float_round_mode_16_64 0
		.amdhsa_float_denorm_mode_32 3
		.amdhsa_float_denorm_mode_16_64 3
		.amdhsa_fp16_overflow 0
		.amdhsa_workgroup_processor_mode 1
		.amdhsa_memory_ordered 1
		.amdhsa_forward_progress 1
		.amdhsa_inst_pref_size 102
		.amdhsa_round_robin_scheduling 0
		.amdhsa_exception_fp_ieee_invalid_op 0
		.amdhsa_exception_fp_denorm_src 0
		.amdhsa_exception_fp_ieee_div_zero 0
		.amdhsa_exception_fp_ieee_overflow 0
		.amdhsa_exception_fp_ieee_underflow 0
		.amdhsa_exception_fp_ieee_inexact 0
		.amdhsa_exception_int_div_zero 0
	.end_amdhsa_kernel
	.text
.Lfunc_end0:
	.size	_Z20calculateForceKernelP6atom_tidPKdS2_idiid, .Lfunc_end0-_Z20calculateForceKernelP6atom_tidPKdS2_idiid
                                        ; -- End function
	.set _Z20calculateForceKernelP6atom_tidPKdS2_idiid.num_vgpr, 82
	.set _Z20calculateForceKernelP6atom_tidPKdS2_idiid.num_agpr, 0
	.set _Z20calculateForceKernelP6atom_tidPKdS2_idiid.numbered_sgpr, 105
	.set _Z20calculateForceKernelP6atom_tidPKdS2_idiid.num_named_barrier, 0
	.set _Z20calculateForceKernelP6atom_tidPKdS2_idiid.private_seg_size, 0
	.set _Z20calculateForceKernelP6atom_tidPKdS2_idiid.uses_vcc, 1
	.set _Z20calculateForceKernelP6atom_tidPKdS2_idiid.uses_flat_scratch, 0
	.set _Z20calculateForceKernelP6atom_tidPKdS2_idiid.has_dyn_sized_stack, 0
	.set _Z20calculateForceKernelP6atom_tidPKdS2_idiid.has_recursion, 0
	.set _Z20calculateForceKernelP6atom_tidPKdS2_idiid.has_indirect_call, 0
	.section	.AMDGPU.csdata,"",@progbits
; Kernel info:
; codeLenInByte = 13016
; TotalNumSgprs: 107
; NumVgprs: 82
; ScratchSize: 0
; MemoryBound: 1
; FloatMode: 240
; IeeeMode: 1
; LDSByteSize: 0 bytes/workgroup (compile time only)
; SGPRBlocks: 0
; VGPRBlocks: 10
; NumSGPRsForWavesPerEU: 107
; NumVGPRsForWavesPerEU: 82
; Occupancy: 16
; WaveLimiterHint : 1
; COMPUTE_PGM_RSRC2:SCRATCH_EN: 0
; COMPUTE_PGM_RSRC2:USER_SGPR: 2
; COMPUTE_PGM_RSRC2:TRAP_HANDLER: 0
; COMPUTE_PGM_RSRC2:TGID_X_EN: 1
; COMPUTE_PGM_RSRC2:TGID_Y_EN: 0
; COMPUTE_PGM_RSRC2:TGID_Z_EN: 0
; COMPUTE_PGM_RSRC2:TIDIG_COMP_CNT: 0
	.text
	.p2alignl 7, 3214868480
	.fill 96, 4, 3214868480
	.section	.AMDGPU.gpr_maximums,"",@progbits
	.set amdgpu.max_num_vgpr, 0
	.set amdgpu.max_num_agpr, 0
	.set amdgpu.max_num_sgpr, 0
	.text
	.type	__hip_cuid_7b311d0a2f187ac6,@object ; @__hip_cuid_7b311d0a2f187ac6
	.section	.bss,"aw",@nobits
	.globl	__hip_cuid_7b311d0a2f187ac6
__hip_cuid_7b311d0a2f187ac6:
	.byte	0                               ; 0x0
	.size	__hip_cuid_7b311d0a2f187ac6, 1

	.ident	"AMD clang version 22.0.0git (https://github.com/RadeonOpenCompute/llvm-project roc-7.2.4 26084 f58b06dce1f9c15707c5f808fd002e18c2accf7e)"
	.section	".note.GNU-stack","",@progbits
	.addrsig
	.addrsig_sym __hip_cuid_7b311d0a2f187ac6
	.amdgpu_metadata
---
amdhsa.kernels:
  - .args:
      - .address_space:  global
        .offset:         0
        .size:           8
        .value_kind:     global_buffer
      - .offset:         8
        .size:           4
        .value_kind:     by_value
      - .offset:         16
        .size:           8
        .value_kind:     by_value
      - .actual_access:  read_only
        .address_space:  global
        .offset:         24
        .size:           8
        .value_kind:     global_buffer
      - .actual_access:  read_only
        .address_space:  global
        .offset:         32
        .size:           8
        .value_kind:     global_buffer
      - .offset:         40
        .size:           4
        .value_kind:     by_value
      - .offset:         48
        .size:           8
        .value_kind:     by_value
      - .offset:         56
        .size:           4
        .value_kind:     by_value
      - .offset:         60
        .size:           4
        .value_kind:     by_value
      - .offset:         64
        .size:           8
        .value_kind:     by_value
      - .offset:         72
        .size:           4
        .value_kind:     hidden_block_count_x
      - .offset:         76
        .size:           4
        .value_kind:     hidden_block_count_y
      - .offset:         80
        .size:           4
        .value_kind:     hidden_block_count_z
      - .offset:         84
        .size:           2
        .value_kind:     hidden_group_size_x
      - .offset:         86
        .size:           2
        .value_kind:     hidden_group_size_y
      - .offset:         88
        .size:           2
        .value_kind:     hidden_group_size_z
      - .offset:         90
        .size:           2
        .value_kind:     hidden_remainder_x
      - .offset:         92
        .size:           2
        .value_kind:     hidden_remainder_y
      - .offset:         94
        .size:           2
        .value_kind:     hidden_remainder_z
      - .offset:         112
        .size:           8
        .value_kind:     hidden_global_offset_x
      - .offset:         120
        .size:           8
        .value_kind:     hidden_global_offset_y
      - .offset:         128
        .size:           8
        .value_kind:     hidden_global_offset_z
      - .offset:         136
        .size:           2
        .value_kind:     hidden_grid_dims
    .group_segment_fixed_size: 0
    .kernarg_segment_align: 8
    .kernarg_segment_size: 328
    .language:       OpenCL C
    .language_version:
      - 2
      - 0
    .max_flat_workgroup_size: 1024
    .name:           _Z20calculateForceKernelP6atom_tidPKdS2_idiid
    .private_segment_fixed_size: 0
    .sgpr_count:     107
    .sgpr_spill_count: 42
    .symbol:         _Z20calculateForceKernelP6atom_tidPKdS2_idiid.kd
    .uniform_work_group_size: 1
    .uses_dynamic_stack: false
    .vgpr_count:     82
    .vgpr_spill_count: 0
    .wavefront_size: 32
    .workgroup_processor_mode: 1
amdhsa.target:   amdgcn-amd-amdhsa--gfx1201
amdhsa.version:
  - 1
  - 2
...

	.end_amdgpu_metadata
